;; amdgpu-corpus repo=ROCm/rocFFT kind=compiled arch=gfx1030 opt=O3
	.text
	.amdgcn_target "amdgcn-amd-amdhsa--gfx1030"
	.amdhsa_code_object_version 6
	.protected	fft_rtc_back_len1512_factors_2_2_2_3_3_3_7_wgs_63_tpt_63_halfLds_half_ip_CI_sbrr_dirReg ; -- Begin function fft_rtc_back_len1512_factors_2_2_2_3_3_3_7_wgs_63_tpt_63_halfLds_half_ip_CI_sbrr_dirReg
	.globl	fft_rtc_back_len1512_factors_2_2_2_3_3_3_7_wgs_63_tpt_63_halfLds_half_ip_CI_sbrr_dirReg
	.p2align	8
	.type	fft_rtc_back_len1512_factors_2_2_2_3_3_3_7_wgs_63_tpt_63_halfLds_half_ip_CI_sbrr_dirReg,@function
fft_rtc_back_len1512_factors_2_2_2_3_3_3_7_wgs_63_tpt_63_halfLds_half_ip_CI_sbrr_dirReg: ; @fft_rtc_back_len1512_factors_2_2_2_3_3_3_7_wgs_63_tpt_63_halfLds_half_ip_CI_sbrr_dirReg
; %bb.0:
	s_clause 0x2
	s_load_dwordx2 s[14:15], s[4:5], 0x18
	s_load_dwordx4 s[8:11], s[4:5], 0x0
	s_load_dwordx2 s[12:13], s[4:5], 0x50
	v_mul_u32_u24_e32 v1, 0x411, v0
	v_mov_b32_e32 v3, 0
	v_add_nc_u32_sdwa v5, s6, v1 dst_sel:DWORD dst_unused:UNUSED_PAD src0_sel:DWORD src1_sel:WORD_1
	v_mov_b32_e32 v1, 0
	v_mov_b32_e32 v6, v3
	v_mov_b32_e32 v2, 0
	s_waitcnt lgkmcnt(0)
	s_load_dwordx2 s[2:3], s[14:15], 0x0
	v_cmp_lt_u64_e64 s0, s[10:11], 2
	s_and_b32 vcc_lo, exec_lo, s0
	s_cbranch_vccnz .LBB0_8
; %bb.1:
	s_load_dwordx2 s[0:1], s[4:5], 0x10
	v_mov_b32_e32 v1, 0
	s_add_u32 s6, s14, 8
	v_mov_b32_e32 v2, 0
	s_addc_u32 s7, s15, 0
	s_mov_b64 s[18:19], 1
	s_waitcnt lgkmcnt(0)
	s_add_u32 s16, s0, 8
	s_addc_u32 s17, s1, 0
.LBB0_2:                                ; =>This Inner Loop Header: Depth=1
	s_load_dwordx2 s[20:21], s[16:17], 0x0
                                        ; implicit-def: $vgpr7_vgpr8
	s_mov_b32 s0, exec_lo
	s_waitcnt lgkmcnt(0)
	v_or_b32_e32 v4, s21, v6
	v_cmpx_ne_u64_e32 0, v[3:4]
	s_xor_b32 s1, exec_lo, s0
	s_cbranch_execz .LBB0_4
; %bb.3:                                ;   in Loop: Header=BB0_2 Depth=1
	v_cvt_f32_u32_e32 v4, s20
	v_cvt_f32_u32_e32 v7, s21
	s_sub_u32 s0, 0, s20
	s_subb_u32 s22, 0, s21
	v_fmac_f32_e32 v4, 0x4f800000, v7
	v_rcp_f32_e32 v4, v4
	v_mul_f32_e32 v4, 0x5f7ffffc, v4
	v_mul_f32_e32 v7, 0x2f800000, v4
	v_trunc_f32_e32 v7, v7
	v_fmac_f32_e32 v4, 0xcf800000, v7
	v_cvt_u32_f32_e32 v7, v7
	v_cvt_u32_f32_e32 v4, v4
	v_mul_lo_u32 v8, s0, v7
	v_mul_hi_u32 v9, s0, v4
	v_mul_lo_u32 v10, s22, v4
	v_add_nc_u32_e32 v8, v9, v8
	v_mul_lo_u32 v9, s0, v4
	v_add_nc_u32_e32 v8, v8, v10
	v_mul_hi_u32 v10, v4, v9
	v_mul_lo_u32 v11, v4, v8
	v_mul_hi_u32 v12, v4, v8
	v_mul_hi_u32 v13, v7, v9
	v_mul_lo_u32 v9, v7, v9
	v_mul_hi_u32 v14, v7, v8
	v_mul_lo_u32 v8, v7, v8
	v_add_co_u32 v10, vcc_lo, v10, v11
	v_add_co_ci_u32_e32 v11, vcc_lo, 0, v12, vcc_lo
	v_add_co_u32 v9, vcc_lo, v10, v9
	v_add_co_ci_u32_e32 v9, vcc_lo, v11, v13, vcc_lo
	v_add_co_ci_u32_e32 v10, vcc_lo, 0, v14, vcc_lo
	v_add_co_u32 v8, vcc_lo, v9, v8
	v_add_co_ci_u32_e32 v9, vcc_lo, 0, v10, vcc_lo
	v_add_co_u32 v4, vcc_lo, v4, v8
	v_add_co_ci_u32_e32 v7, vcc_lo, v7, v9, vcc_lo
	v_mul_hi_u32 v8, s0, v4
	v_mul_lo_u32 v10, s22, v4
	v_mul_lo_u32 v9, s0, v7
	v_add_nc_u32_e32 v8, v8, v9
	v_mul_lo_u32 v9, s0, v4
	v_add_nc_u32_e32 v8, v8, v10
	v_mul_hi_u32 v10, v4, v9
	v_mul_lo_u32 v11, v4, v8
	v_mul_hi_u32 v12, v4, v8
	v_mul_hi_u32 v13, v7, v9
	v_mul_lo_u32 v9, v7, v9
	v_mul_hi_u32 v14, v7, v8
	v_mul_lo_u32 v8, v7, v8
	v_add_co_u32 v10, vcc_lo, v10, v11
	v_add_co_ci_u32_e32 v11, vcc_lo, 0, v12, vcc_lo
	v_add_co_u32 v9, vcc_lo, v10, v9
	v_add_co_ci_u32_e32 v9, vcc_lo, v11, v13, vcc_lo
	v_add_co_ci_u32_e32 v10, vcc_lo, 0, v14, vcc_lo
	v_add_co_u32 v8, vcc_lo, v9, v8
	v_add_co_ci_u32_e32 v9, vcc_lo, 0, v10, vcc_lo
	v_add_co_u32 v4, vcc_lo, v4, v8
	v_add_co_ci_u32_e32 v11, vcc_lo, v7, v9, vcc_lo
	v_mul_hi_u32 v13, v5, v4
	v_mad_u64_u32 v[9:10], null, v6, v4, 0
	v_mad_u64_u32 v[7:8], null, v5, v11, 0
	;; [unrolled: 1-line block ×3, first 2 shown]
	v_add_co_u32 v4, vcc_lo, v13, v7
	v_add_co_ci_u32_e32 v7, vcc_lo, 0, v8, vcc_lo
	v_add_co_u32 v4, vcc_lo, v4, v9
	v_add_co_ci_u32_e32 v4, vcc_lo, v7, v10, vcc_lo
	v_add_co_ci_u32_e32 v7, vcc_lo, 0, v12, vcc_lo
	v_add_co_u32 v4, vcc_lo, v4, v11
	v_add_co_ci_u32_e32 v9, vcc_lo, 0, v7, vcc_lo
	v_mul_lo_u32 v10, s21, v4
	v_mad_u64_u32 v[7:8], null, s20, v4, 0
	v_mul_lo_u32 v11, s20, v9
	v_sub_co_u32 v7, vcc_lo, v5, v7
	v_add3_u32 v8, v8, v11, v10
	v_sub_nc_u32_e32 v10, v6, v8
	v_subrev_co_ci_u32_e64 v10, s0, s21, v10, vcc_lo
	v_add_co_u32 v11, s0, v4, 2
	v_add_co_ci_u32_e64 v12, s0, 0, v9, s0
	v_sub_co_u32 v13, s0, v7, s20
	v_sub_co_ci_u32_e32 v8, vcc_lo, v6, v8, vcc_lo
	v_subrev_co_ci_u32_e64 v10, s0, 0, v10, s0
	v_cmp_le_u32_e32 vcc_lo, s20, v13
	v_cmp_eq_u32_e64 s0, s21, v8
	v_cndmask_b32_e64 v13, 0, -1, vcc_lo
	v_cmp_le_u32_e32 vcc_lo, s21, v10
	v_cndmask_b32_e64 v14, 0, -1, vcc_lo
	v_cmp_le_u32_e32 vcc_lo, s20, v7
	;; [unrolled: 2-line block ×3, first 2 shown]
	v_cndmask_b32_e64 v15, 0, -1, vcc_lo
	v_cmp_eq_u32_e32 vcc_lo, s21, v10
	v_cndmask_b32_e64 v7, v15, v7, s0
	v_cndmask_b32_e32 v10, v14, v13, vcc_lo
	v_add_co_u32 v13, vcc_lo, v4, 1
	v_add_co_ci_u32_e32 v14, vcc_lo, 0, v9, vcc_lo
	v_cmp_ne_u32_e32 vcc_lo, 0, v10
	v_cndmask_b32_e32 v8, v14, v12, vcc_lo
	v_cndmask_b32_e32 v10, v13, v11, vcc_lo
	v_cmp_ne_u32_e32 vcc_lo, 0, v7
	v_cndmask_b32_e32 v8, v9, v8, vcc_lo
	v_cndmask_b32_e32 v7, v4, v10, vcc_lo
.LBB0_4:                                ;   in Loop: Header=BB0_2 Depth=1
	s_andn2_saveexec_b32 s0, s1
	s_cbranch_execz .LBB0_6
; %bb.5:                                ;   in Loop: Header=BB0_2 Depth=1
	v_cvt_f32_u32_e32 v4, s20
	s_sub_i32 s1, 0, s20
	v_rcp_iflag_f32_e32 v4, v4
	v_mul_f32_e32 v4, 0x4f7ffffe, v4
	v_cvt_u32_f32_e32 v4, v4
	v_mul_lo_u32 v7, s1, v4
	v_mul_hi_u32 v7, v4, v7
	v_add_nc_u32_e32 v4, v4, v7
	v_mul_hi_u32 v4, v5, v4
	v_mul_lo_u32 v7, v4, s20
	v_add_nc_u32_e32 v8, 1, v4
	v_sub_nc_u32_e32 v7, v5, v7
	v_subrev_nc_u32_e32 v9, s20, v7
	v_cmp_le_u32_e32 vcc_lo, s20, v7
	v_cndmask_b32_e32 v7, v7, v9, vcc_lo
	v_cndmask_b32_e32 v4, v4, v8, vcc_lo
	v_cmp_le_u32_e32 vcc_lo, s20, v7
	v_add_nc_u32_e32 v8, 1, v4
	v_cndmask_b32_e32 v7, v4, v8, vcc_lo
	v_mov_b32_e32 v8, v3
.LBB0_6:                                ;   in Loop: Header=BB0_2 Depth=1
	s_or_b32 exec_lo, exec_lo, s0
	s_load_dwordx2 s[0:1], s[6:7], 0x0
	v_mul_lo_u32 v4, v8, s20
	v_mul_lo_u32 v11, v7, s21
	v_mad_u64_u32 v[9:10], null, v7, s20, 0
	s_add_u32 s18, s18, 1
	s_addc_u32 s19, s19, 0
	s_add_u32 s6, s6, 8
	s_addc_u32 s7, s7, 0
	;; [unrolled: 2-line block ×3, first 2 shown]
	v_add3_u32 v4, v10, v11, v4
	v_sub_co_u32 v5, vcc_lo, v5, v9
	v_sub_co_ci_u32_e32 v4, vcc_lo, v6, v4, vcc_lo
	s_waitcnt lgkmcnt(0)
	v_mul_lo_u32 v6, s1, v5
	v_mul_lo_u32 v4, s0, v4
	v_mad_u64_u32 v[1:2], null, s0, v5, v[1:2]
	v_cmp_ge_u64_e64 s0, s[18:19], s[10:11]
	s_and_b32 vcc_lo, exec_lo, s0
	v_add3_u32 v2, v6, v2, v4
	s_cbranch_vccnz .LBB0_9
; %bb.7:                                ;   in Loop: Header=BB0_2 Depth=1
	v_mov_b32_e32 v5, v7
	v_mov_b32_e32 v6, v8
	s_branch .LBB0_2
.LBB0_8:
	v_mov_b32_e32 v8, v6
	v_mov_b32_e32 v7, v5
.LBB0_9:
	s_lshl_b64 s[0:1], s[10:11], 3
	v_mul_hi_u32 v3, 0x4104105, v0
	s_add_u32 s0, s14, s0
	s_addc_u32 s1, s15, s1
	s_load_dwordx2 s[4:5], s[4:5], 0x20
	s_load_dwordx2 s[0:1], s[0:1], 0x0
                                        ; implicit-def: $vgpr25
                                        ; implicit-def: $vgpr24
                                        ; implicit-def: $vgpr21
	v_mul_u32_u24_e32 v3, 63, v3
	v_sub_nc_u32_e32 v20, v0, v3
	v_add_nc_u32_e32 v23, 63, v20
	v_add_nc_u32_e32 v22, 0x7e, v20
	v_add_nc_u32_e32 v29, 0xfc, v20
	v_add_nc_u32_e32 v28, 0x13b, v20
	v_add_nc_u32_e32 v26, 0x17a, v20
	s_waitcnt lgkmcnt(0)
	v_cmp_gt_u64_e32 vcc_lo, s[4:5], v[7:8]
	v_mul_lo_u32 v3, s0, v8
	v_mul_lo_u32 v6, s1, v7
	v_mad_u64_u32 v[0:1], null, s0, v7, v[1:2]
	v_cmp_le_u64_e64 s0, s[4:5], v[7:8]
	v_add_nc_u32_e32 v27, 0x1b9, v20
	v_add_nc_u32_e32 v9, 0x1f8, v20
	;; [unrolled: 1-line block ×4, first 2 shown]
                                        ; implicit-def: $sgpr4
	v_add3_u32 v1, v6, v1, v3
	v_add_nc_u32_e32 v3, 0x2b5, v20
	s_and_saveexec_b32 s1, s0
	s_xor_b32 s0, exec_lo, s1
	s_cbranch_execz .LBB0_11
; %bb.10:
	v_add_nc_u32_e32 v25, 63, v20
	v_add_nc_u32_e32 v24, 0x7e, v20
	;; [unrolled: 1-line block ×11, first 2 shown]
	s_mov_b32 s4, 0
.LBB0_11:
	s_or_saveexec_b32 s1, s0
	v_lshlrev_b64 v[0:1], 2, v[0:1]
	v_mov_b32_e32 v2, s4
	v_mov_b32_e32 v17, s4
	;; [unrolled: 1-line block ×12, first 2 shown]
                                        ; implicit-def: $vgpr31
                                        ; implicit-def: $vgpr10
                                        ; implicit-def: $vgpr46
                                        ; implicit-def: $vgpr8
                                        ; implicit-def: $vgpr83
                                        ; implicit-def: $vgpr7
                                        ; implicit-def: $vgpr79
                                        ; implicit-def: $vgpr6
                                        ; implicit-def: $vgpr80
                                        ; implicit-def: $vgpr13
                                        ; implicit-def: $vgpr81
                                        ; implicit-def: $vgpr12
                                        ; implicit-def: $vgpr82
                                        ; implicit-def: $vgpr11
                                        ; implicit-def: $vgpr78
                                        ; implicit-def: $vgpr14
                                        ; implicit-def: $vgpr74
                                        ; implicit-def: $vgpr15
                                        ; implicit-def: $vgpr75
                                        ; implicit-def: $vgpr16
                                        ; implicit-def: $vgpr76
                                        ; implicit-def: $vgpr30
                                        ; implicit-def: $vgpr77
                                        ; implicit-def: $vgpr18
	s_xor_b32 exec_lo, exec_lo, s1
	s_cbranch_execz .LBB0_13
; %bb.12:
	v_mad_u64_u32 v[6:7], null, s2, v20, 0
	v_add_nc_u32_e32 v14, 0x2f4, v20
	v_mad_u64_u32 v[12:13], null, s2, v23, 0
	v_add_nc_u32_e32 v21, 0xbd, v20
	v_add_co_u32 v49, s0, s12, v0
	v_mad_u64_u32 v[10:11], null, s2, v14, 0
	v_mov_b32_e32 v2, v7
	v_mad_u64_u32 v[30:31], null, s2, v21, 0
	v_add_co_ci_u32_e64 v50, s0, s13, v1, s0
	v_mad_u64_u32 v[7:8], null, s3, v20, v[2:3]
	v_mov_b32_e32 v2, v11
	v_add_nc_u32_e32 v8, 0x333, v20
	v_add_nc_u32_e32 v37, 0x3b1, v20
	v_mad_u64_u32 v[42:43], null, s2, v28, 0
	v_mad_u64_u32 v[14:15], null, s3, v14, v[2:3]
	v_mov_b32_e32 v2, v13
	v_mad_u64_u32 v[15:16], null, s2, v8, 0
	v_lshlrev_b64 v[6:7], 2, v[6:7]
	v_add_nc_u32_e32 v48, 0x5a9, v20
	v_mad_u64_u32 v[17:18], null, s3, v23, v[2:3]
	v_mov_b32_e32 v11, v14
	v_mov_b32_e32 v2, v16
	v_add_co_u32 v6, s0, v49, v6
	v_lshlrev_b64 v[10:11], 2, v[10:11]
	v_mov_b32_e32 v13, v17
	v_mad_u64_u32 v[16:17], null, s3, v8, v[2:3]
	v_mad_u64_u32 v[17:18], null, s2, v22, 0
	v_add_nc_u32_e32 v8, 0x372, v20
	v_lshlrev_b64 v[12:13], 2, v[12:13]
	v_add_co_ci_u32_e64 v7, s0, v50, v7, s0
	v_add_co_u32 v10, s0, v49, v10
	v_mad_u64_u32 v[24:25], null, s2, v8, 0
	v_mov_b32_e32 v2, v18
	v_lshlrev_b64 v[14:15], 2, v[15:16]
	v_add_co_ci_u32_e64 v11, s0, v50, v11, s0
	v_add_co_u32 v12, s0, v49, v12
	v_mad_u64_u32 v[18:19], null, s3, v22, v[2:3]
	v_mov_b32_e32 v2, v25
	v_add_co_ci_u32_e64 v13, s0, v50, v13, s0
	v_add_co_u32 v14, s0, v49, v14
	v_mad_u64_u32 v[32:33], null, s3, v8, v[2:3]
	v_mov_b32_e32 v2, v31
	v_mad_u64_u32 v[33:34], null, s2, v37, 0
	v_lshlrev_b64 v[16:17], 2, v[17:18]
	v_add_co_ci_u32_e64 v15, s0, v50, v15, s0
	v_mad_u64_u32 v[18:19], null, s3, v21, v[2:3]
	v_mov_b32_e32 v25, v32
	v_mov_b32_e32 v2, v34
	v_add_co_u32 v35, s0, v49, v16
	v_add_co_ci_u32_e64 v36, s0, v50, v17, s0
	v_lshlrev_b64 v[16:17], 2, v[24:25]
	v_mov_b32_e32 v31, v18
	v_mad_u64_u32 v[18:19], null, s3, v37, v[2:3]
	v_mad_u64_u32 v[24:25], null, s2, v29, 0
	v_add_nc_u32_e32 v8, 0x3f0, v20
	v_add_co_u32 v37, s0, v49, v16
	v_add_co_ci_u32_e64 v38, s0, v50, v17, s0
	v_lshlrev_b64 v[16:17], 2, v[30:31]
	v_mad_u64_u32 v[30:31], null, s2, v8, 0
	v_mov_b32_e32 v34, v18
	v_mov_b32_e32 v2, v25
	v_lshlrev_b64 v[18:19], 2, v[33:34]
	v_mad_u64_u32 v[32:33], null, s3, v29, v[2:3]
	v_mov_b32_e32 v2, v31
	v_add_co_u32 v33, s0, v49, v16
	v_add_co_ci_u32_e64 v34, s0, v50, v17, s0
	v_add_co_u32 v39, s0, v49, v18
	v_mad_u64_u32 v[16:17], null, s3, v8, v[2:3]
	v_add_co_ci_u32_e64 v40, s0, v50, v19, s0
	s_clause 0x7
	global_load_dword v2, v[6:7], off
	global_load_dword v10, v[10:11], off
	;; [unrolled: 1-line block ×8, first 2 shown]
	v_mov_b32_e32 v25, v32
	v_mov_b32_e32 v11, v43
	v_add_nc_u32_e32 v18, 0x42f, v20
	v_mov_b32_e32 v31, v16
	v_add_nc_u32_e32 v37, 0x46e, v20
	v_lshlrev_b64 v[12:13], 2, v[24:25]
	v_mad_u64_u32 v[24:25], null, s2, v26, 0
	v_lshlrev_b64 v[30:31], 2, v[30:31]
	v_mad_u64_u32 v[32:33], null, s2, v37, 0
	v_mad_u64_u32 v[14:15], null, s3, v28, v[11:12]
	;; [unrolled: 1-line block ×3, first 2 shown]
	v_add_co_u32 v11, s0, v49, v12
	v_add_co_ci_u32_e64 v12, s0, v50, v13, s0
	v_mov_b32_e32 v43, v14
	v_mov_b32_e32 v14, v25
	;; [unrolled: 1-line block ×3, first 2 shown]
	v_add_co_u32 v30, s0, v49, v30
	v_add_co_ci_u32_e64 v31, s0, v50, v31, s0
	v_mad_u64_u32 v[34:35], null, s3, v18, v[13:14]
	v_mad_u64_u32 v[13:14], null, s3, v26, v[14:15]
	v_lshlrev_b64 v[35:36], 2, v[42:43]
	v_mov_b32_e32 v14, v33
	v_add_nc_u32_e32 v18, 0x4ad, v20
	v_mad_u64_u32 v[38:39], null, s2, v27, 0
	v_mov_b32_e32 v16, v34
	v_add_co_u32 v34, s0, v49, v35
	v_mov_b32_e32 v25, v13
	v_mad_u64_u32 v[13:14], null, s3, v37, v[14:15]
	v_add_co_ci_u32_e64 v35, s0, v50, v36, s0
	v_mad_u64_u32 v[36:37], null, s2, v18, 0
	v_lshlrev_b64 v[14:15], 2, v[15:16]
	v_mov_b32_e32 v16, v39
	v_mov_b32_e32 v33, v13
	v_lshlrev_b64 v[24:25], 2, v[24:25]
	v_add_co_u32 v14, s0, v49, v14
	v_mov_b32_e32 v13, v37
	v_lshlrev_b64 v[32:33], 2, v[32:33]
	v_add_co_ci_u32_e64 v15, s0, v50, v15, s0
	v_add_co_u32 v24, s0, v49, v24
	v_mad_u64_u32 v[39:40], null, s3, v18, v[13:14]
	v_add_nc_u32_e32 v40, 0x4ec, v20
	v_add_co_ci_u32_e64 v25, s0, v50, v25, s0
	v_add_co_u32 v32, s0, v49, v32
	v_mad_u64_u32 v[45:46], null, s2, v40, 0
	v_mov_b32_e32 v37, v39
	v_add_co_ci_u32_e64 v33, s0, v50, v33, s0
	s_clause 0x5
	global_load_dword v63, v[11:12], off
	global_load_dword v13, v[30:31], off
	global_load_dword v59, v[34:35], off
	global_load_dword v12, v[14:15], off
	global_load_dword v58, v[24:25], off
	global_load_dword v11, v[32:33], off
	v_mov_b32_e32 v18, v46
	s_waitcnt vmcnt(11)
	v_mad_u64_u32 v[42:43], null, s3, v27, v[16:17]
	v_mad_u64_u32 v[43:44], null, s2, v9, 0
	v_lshlrev_b64 v[15:16], 2, v[36:37]
	s_waitcnt vmcnt(7)
	v_mad_u64_u32 v[32:33], null, s3, v40, v[18:19]
	v_add_nc_u32_e32 v18, 0x52b, v20
	v_mov_b32_e32 v39, v42
	v_add_nc_u32_e32 v40, 0x56a, v20
	v_mov_b32_e32 v14, v44
	v_lshrrev_b32_e32 v83, 16, v7
	s_waitcnt vmcnt(6)
	v_lshrrev_b32_e32 v79, 16, v6
	v_lshlrev_b64 v[30:31], 2, v[38:39]
	v_mov_b32_e32 v46, v32
	v_mad_u64_u32 v[24:25], null, s3, v9, v[14:15]
	v_add_co_u32 v14, s0, v49, v15
	v_mad_u64_u32 v[32:33], null, s2, v18, 0
	v_add_co_ci_u32_e64 v15, s0, v50, v16, s0
	v_mov_b32_e32 v44, v24
	v_mad_u64_u32 v[24:25], null, s2, v5, 0
	v_add_co_u32 v34, s0, v49, v30
	v_add_co_ci_u32_e64 v35, s0, v50, v31, s0
	v_lshlrev_b64 v[30:31], 2, v[43:44]
	global_load_dword v14, v[14:15], off
	v_mov_b32_e32 v16, v25
	v_lshlrev_b64 v[36:37], 2, v[45:46]
	v_mad_u64_u32 v[42:43], null, s2, v4, 0
	v_add_co_u32 v38, s0, v49, v30
	v_mad_u64_u32 v[15:16], null, s3, v5, v[16:17]
	v_mov_b32_e32 v16, v33
	v_add_co_ci_u32_e64 v39, s0, v50, v31, s0
	v_add_co_u32 v36, s0, v49, v36
	v_mad_u64_u32 v[30:31], null, s3, v18, v[16:17]
	v_add_co_ci_u32_e64 v37, s0, v50, v37, s0
	v_mov_b32_e32 v25, v15
	v_mov_b32_e32 v16, v43
	global_load_dword v15, v[36:37], off
	v_mov_b32_e32 v33, v30
	v_mad_u64_u32 v[30:31], null, s2, v40, 0
	v_mad_u64_u32 v[36:37], null, s2, v48, 0
	;; [unrolled: 1-line block ×4, first 2 shown]
	v_mov_b32_e32 v18, v31
	v_lshlrev_b64 v[32:33], 2, v[32:33]
	v_mov_b32_e32 v16, v37
	v_lshlrev_b64 v[24:25], 2, v[24:25]
	v_mad_u64_u32 v[46:47], null, s3, v40, v[18:19]
	v_mad_u64_u32 v[47:48], null, s3, v48, v[16:17]
	v_mov_b32_e32 v18, v45
	v_add_co_u32 v32, s0, v49, v32
	v_add_co_ci_u32_e64 v33, s0, v50, v33, s0
	v_mov_b32_e32 v31, v46
	v_mov_b32_e32 v37, v47
	v_mad_u64_u32 v[45:46], null, s3, v3, v[18:19]
	v_add_co_u32 v24, s0, v49, v24
	v_lshlrev_b64 v[30:31], 2, v[30:31]
	v_lshlrev_b64 v[36:37], 2, v[36:37]
	v_add_co_ci_u32_e64 v25, s0, v50, v25, s0
	global_load_dword v16, v[32:33], off
	v_lshlrev_b64 v[32:33], 2, v[42:43]
	v_add_co_u32 v30, s0, v49, v30
	v_add_co_ci_u32_e64 v31, s0, v50, v31, s0
	v_lshlrev_b64 v[42:43], 2, v[44:45]
	v_add_co_u32 v36, s0, v49, v36
	v_add_co_ci_u32_e64 v37, s0, v50, v37, s0
	v_add_co_u32 v32, s0, v49, v32
	v_add_co_ci_u32_e64 v33, s0, v50, v33, s0
	s_clause 0x1
	global_load_dword v30, v[30:31], off
	global_load_dword v18, v[36:37], off
	v_add_co_u32 v36, s0, v49, v42
	v_add_co_ci_u32_e64 v37, s0, v50, v43, s0
	s_clause 0x4
	global_load_dword v73, v[34:35], off
	global_load_dword v72, v[38:39], off
	;; [unrolled: 1-line block ×5, first 2 shown]
	v_mov_b32_e32 v24, v22
	v_lshrrev_b32_e32 v31, 16, v10
	v_lshrrev_b32_e32 v46, 16, v8
	s_waitcnt vmcnt(14)
	v_lshrrev_b32_e32 v80, 16, v13
	s_waitcnt vmcnt(12)
	;; [unrolled: 2-line block ×3, first 2 shown]
	v_lshrrev_b32_e32 v82, 16, v11
	v_mov_b32_e32 v25, v23
	s_waitcnt vmcnt(9)
	v_lshrrev_b32_e32 v78, 16, v14
	s_waitcnt vmcnt(8)
	v_lshrrev_b32_e32 v74, 16, v15
	;; [unrolled: 2-line block ×5, first 2 shown]
.LBB0_13:
	s_or_b32 exec_lo, exec_lo, s1
	v_sub_f16_e32 v10, v2, v10
	v_sub_f16_e32 v7, v41, v7
	;; [unrolled: 1-line block ×3, first 2 shown]
	v_lshrrev_b32_e32 v32, 16, v2
	v_sub_f16_e32 v33, v19, v6
	v_sub_f16_e32 v13, v63, v13
	v_fma_f16 v2, v2, 2.0, -v10
	v_fma_f16 v34, v41, 2.0, -v7
	;; [unrolled: 1-line block ×3, first 2 shown]
	v_sub_f16_e32 v12, v59, v12
	v_fma_f16 v35, v19, 2.0, -v33
	v_fma_f16 v36, v63, 2.0, -v13
	v_sub_f16_e32 v11, v58, v11
	v_lshl_add_u32 v84, v20, 2, 0
	v_pack_b32_f16 v2, v2, v10
	v_lshl_add_u32 v86, v24, 2, 0
	v_pack_b32_f16 v7, v34, v7
	v_lshl_add_u32 v85, v25, 2, 0
	v_pack_b32_f16 v6, v6, v8
	v_fma_f16 v37, v59, 2.0, -v12
	s_waitcnt vmcnt(4)
	v_sub_f16_e32 v14, v73, v14
	s_waitcnt vmcnt(3)
	v_sub_f16_e32 v15, v72, v15
	;; [unrolled: 2-line block ×4, first 2 shown]
	v_fma_f16 v38, v58, 2.0, -v11
	ds_write_b32 v84, v2
	ds_write_b32 v85, v6
	;; [unrolled: 1-line block ×3, first 2 shown]
	v_pack_b32_f16 v7, v35, v33
	v_lshl_add_u32 v33, v21, 2, 0
	v_pack_b32_f16 v10, v36, v13
	v_lshl_add_u32 v87, v29, 2, 0
	v_lshrrev_b32_e32 v41, 16, v41
	v_lshrrev_b32_e32 v56, 16, v17
	;; [unrolled: 1-line block ×3, first 2 shown]
	v_fma_f16 v39, v73, 2.0, -v14
	v_pack_b32_f16 v12, v37, v12
	v_lshl_add_u32 v88, v28, 2, 0
	v_lshrrev_b32_e32 v63, 16, v63
	v_fma_f16 v40, v72, 2.0, -v15
	v_sub_f16_e32 v31, v32, v31
	v_fma_f16 v42, v71, 2.0, -v16
	v_fma_f16 v43, v70, 2.0, -v30
	s_waitcnt vmcnt(0)
	v_sub_f16_e32 v18, v69, v18
	ds_write_b32 v33, v7
	ds_write_b32 v87, v10
	v_pack_b32_f16 v10, v38, v11
	v_lshl_add_u32 v89, v26, 2, 0
	v_sub_f16_e32 v83, v41, v83
	v_lshrrev_b32_e32 v59, 16, v59
	v_sub_f16_e32 v96, v56, v46
	v_lshrrev_b32_e32 v58, 16, v58
	v_sub_f16_e32 v79, v19, v79
	ds_write_b32 v88, v12
	v_pack_b32_f16 v12, v39, v14
	v_lshl_add_u32 v90, v27, 2, 0
	v_sub_f16_e32 v80, v63, v80
	v_pack_b32_f16 v13, v40, v15
	v_lshl_add_u32 v91, v9, 2, 0
	v_fma_f16 v32, v32, 2.0, -v31
	v_fma_f16 v44, v69, 2.0, -v18
	v_lshlrev_b32_e32 v2, 1, v20
	v_lshlrev_b32_e32 v8, 1, v24
	;; [unrolled: 1-line block ×4, first 2 shown]
	ds_write_b32 v89, v10
	v_lshlrev_b32_e32 v10, 1, v9
	v_pack_b32_f16 v9, v42, v16
	v_lshl_add_u32 v92, v5, 2, 0
	v_pack_b32_f16 v15, v43, v30
	v_lshl_add_u32 v93, v4, 2, 0
	v_fma_f16 v41, v41, 2.0, -v83
	v_sub_f16_e32 v81, v59, v81
	v_lshlrev_b32_e32 v6, 1, v25
	v_lshlrev_b32_e32 v11, 1, v28
	v_fma_f16 v97, v56, 2.0, -v96
	v_sub_f16_e32 v82, v58, v82
	v_fma_f16 v19, v19, 2.0, -v79
	ds_write_b32 v90, v12
	v_lshlrev_b32_e32 v12, 1, v26
	v_fma_f16 v63, v63, 2.0, -v80
	ds_write_b32 v91, v13
	v_lshlrev_b32_e32 v13, 1, v27
	v_pack_b32_f16 v16, v44, v18
	v_lshl_add_u32 v94, v3, 2, 0
	ds_write_b32 v92, v9
	v_lshlrev_b32_e32 v14, 1, v5
	ds_write_b32 v93, v15
	v_lshlrev_b32_e32 v15, 1, v4
	v_add_nc_u32_e32 v30, 0, v8
	v_sub_nc_u32_e32 v35, v33, v34
	v_pack_b32_f16 v95, v32, v31
	v_lshlrev_b32_e32 v18, 1, v3
	v_add_nc_u32_e32 v31, 0, v2
	v_sub_nc_u32_e32 v37, v87, v7
	v_pack_b32_f16 v41, v41, v83
	v_fma_f16 v59, v59, 2.0, -v81
	v_add_nc_u32_e32 v32, 0, v6
	v_sub_nc_u32_e32 v38, v88, v11
	v_pack_b32_f16 v96, v97, v96
	v_fma_f16 v58, v58, 2.0, -v82
	v_pack_b32_f16 v19, v19, v79
	v_sub_nc_u32_e32 v36, v89, v12
	v_pack_b32_f16 v63, v63, v80
	v_sub_nc_u32_e32 v39, v90, v13
	v_sub_nc_u32_e32 v40, v91, v10
	ds_write_b32 v94, v16
	s_waitcnt lgkmcnt(0)
	s_barrier
	buffer_gl0_inv
	ds_read_u16 v42, v35
	ds_read_u16 v43, v31
	ds_read_u16 v55, v31 offset:1512
	ds_read_u16 v65, v31 offset:1638
	;; [unrolled: 1-line block ×7, first 2 shown]
	v_sub_nc_u32_e32 v9, v92, v14
	v_sub_nc_u32_e32 v16, v93, v15
	ds_read_u16 v68, v31 offset:2394
	ds_read_u16 v60, v31 offset:2520
	;; [unrolled: 1-line block ×4, first 2 shown]
	v_sub_nc_u32_e32 v17, v94, v18
	ds_read_u16 v46, v37
	ds_read_u16 v47, v38
	;; [unrolled: 1-line block ×10, first 2 shown]
	ds_read_u16 v66, v31 offset:2898
	s_waitcnt lgkmcnt(0)
	s_barrier
	buffer_gl0_inv
	ds_write_b32 v84, v95
	ds_write_b32 v85, v96
	;; [unrolled: 1-line block ×3, first 2 shown]
	v_pack_b32_f16 v41, v59, v81
	v_pack_b32_f16 v58, v58, v82
	ds_write_b32 v33, v19
	ds_write_b32 v87, v63
	v_lshrrev_b32_e32 v19, 16, v73
	ds_write_b32 v88, v41
	ds_write_b32 v89, v58
	v_lshrrev_b32_e32 v41, 16, v72
	v_lshrrev_b32_e32 v58, 16, v71
	v_sub_f16_e32 v59, v19, v78
	v_lshrrev_b32_e32 v63, 16, v70
	v_lshrrev_b32_e32 v69, 16, v69
	v_sub_f16_e32 v70, v41, v74
	v_sub_f16_e32 v71, v58, v75
	v_fma_f16 v19, v19, 2.0, -v59
	v_sub_f16_e32 v72, v63, v76
	v_sub_f16_e32 v73, v69, v77
	v_fma_f16 v41, v41, 2.0, -v70
	v_fma_f16 v58, v58, 2.0, -v71
	v_pack_b32_f16 v19, v19, v59
	v_fma_f16 v59, v63, 2.0, -v72
	v_fma_f16 v63, v69, 2.0, -v73
	v_pack_b32_f16 v41, v41, v70
	v_pack_b32_f16 v58, v58, v71
	ds_write_b32 v90, v19
	v_pack_b32_f16 v19, v59, v72
	v_pack_b32_f16 v59, v63, v73
	ds_write_b32 v91, v41
	ds_write_b32 v92, v58
	v_and_b32_e32 v41, 1, v25
	ds_write_b32 v93, v19
	ds_write_b32 v94, v59
	v_and_b32_e32 v19, 1, v21
	v_and_b32_e32 v59, 1, v28
	v_lshlrev_b32_e32 v58, 2, v41
	v_and_b32_e32 v63, 1, v27
	s_waitcnt lgkmcnt(0)
	v_lshlrev_b32_e32 v69, 2, v19
	s_barrier
	buffer_gl0_inv
	v_lshlrev_b32_e32 v70, 2, v59
	s_clause 0x1
	global_load_dword v58, v58, s[8:9]
	global_load_dword v69, v69, s[8:9]
	v_lshlrev_b32_e32 v71, 2, v63
	v_and_b32_e32 v72, 1, v5
	global_load_dword v70, v70, s[8:9]
	v_and_b32_e32 v74, 1, v3
	v_and_b32_e32 v73, 1, v20
	global_load_dword v71, v71, s[8:9]
	v_lshlrev_b32_e32 v75, 2, v72
	v_and_or_b32 v41, 0xfc, v6, v41
	v_lshlrev_b32_e32 v76, 2, v74
	v_lshlrev_b32_e32 v77, 2, v73
	s_clause 0x2
	global_load_dword v75, v75, s[8:9]
	global_load_dword v76, v76, s[8:9]
	global_load_dword v77, v77, s[8:9]
	v_and_or_b32 v59, 0x2fc, v11, v59
	v_and_or_b32 v63, 0x3fc, v13, v63
	v_lshl_add_u32 v83, v41, 1, 0
	v_and_or_b32 v78, 0x7c, v2, v73
	v_and_or_b32 v79, 0x1fc, v8, v73
	v_lshl_add_u32 v84, v59, 1, 0
	v_lshl_add_u32 v85, v63, 1, 0
	ds_read_u16 v41, v31 offset:1638
	ds_read_u16 v59, v31 offset:2394
	;; [unrolled: 1-line block ×9, first 2 shown]
	ds_read_u16 v92, v35
	ds_read_u16 v93, v30
	;; [unrolled: 1-line block ×3, first 2 shown]
	ds_read_u16 v95, v31 offset:2646
	ds_read_u16 v96, v31 offset:2520
	;; [unrolled: 1-line block ×3, first 2 shown]
	ds_read_u16 v98, v31
	ds_read_u16 v99, v37
	;; [unrolled: 1-line block ×9, first 2 shown]
	v_lshl_add_u32 v78, v78, 1, 0
	v_and_or_b32 v19, 0x1fc, v34, v19
	v_and_or_b32 v80, 0x3fc, v7, v73
	;; [unrolled: 1-line block ×7, first 2 shown]
	v_lshl_add_u32 v79, v79, 1, 0
	s_waitcnt vmcnt(0) lgkmcnt(0)
	s_barrier
	buffer_gl0_inv
	v_lshl_add_u32 v19, v19, 1, 0
	v_lshl_add_u32 v80, v80, 1, 0
	;; [unrolled: 1-line block ×7, first 2 shown]
	v_and_b32_e32 v5, 3, v5
	v_and_b32_e32 v4, 3, v4
	;; [unrolled: 1-line block ×3, first 2 shown]
	v_cmp_gt_u32_e64 s0, 9, v20
	v_mul_f16_sdwa v107, v41, v58 dst_sel:DWORD dst_unused:UNUSED_PAD src0_sel:DWORD src1_sel:WORD_1
	v_mul_f16_sdwa v108, v65, v58 dst_sel:DWORD dst_unused:UNUSED_PAD src0_sel:DWORD src1_sel:WORD_1
	;; [unrolled: 1-line block ×4, first 2 shown]
	v_fmac_f16_e32 v107, v65, v58
	v_mul_f16_sdwa v65, v86, v70 dst_sel:DWORD dst_unused:UNUSED_PAD src0_sel:DWORD src1_sel:WORD_1
	v_fma_f16 v108, v41, v58, -v108
	v_mul_f16_sdwa v41, v62, v70 dst_sel:DWORD dst_unused:UNUSED_PAD src0_sel:DWORD src1_sel:WORD_1
	v_mul_f16_sdwa v58, v59, v71 dst_sel:DWORD dst_unused:UNUSED_PAD src0_sel:DWORD src1_sel:WORD_1
	v_fmac_f16_e32 v109, v64, v69
	v_mul_f16_sdwa v64, v68, v71 dst_sel:DWORD dst_unused:UNUSED_PAD src0_sel:DWORD src1_sel:WORD_1
	v_fma_f16 v69, v88, v69, -v110
	v_mul_f16_sdwa v88, v95, v75 dst_sel:DWORD dst_unused:UNUSED_PAD src0_sel:DWORD src1_sel:WORD_1
	v_mul_f16_sdwa v110, v67, v75 dst_sel:DWORD dst_unused:UNUSED_PAD src0_sel:DWORD src1_sel:WORD_1
	v_fmac_f16_e32 v65, v62, v70
	v_mul_f16_sdwa v62, v97, v77 dst_sel:DWORD dst_unused:UNUSED_PAD src0_sel:DWORD src1_sel:WORD_1
	v_fma_f16 v70, v86, v70, -v41
	v_mul_f16_sdwa v41, v55, v77 dst_sel:DWORD dst_unused:UNUSED_PAD src0_sel:DWORD src1_sel:WORD_1
	v_fmac_f16_e32 v58, v68, v71
	v_mul_f16_sdwa v68, v54, v77 dst_sel:DWORD dst_unused:UNUSED_PAD src0_sel:DWORD src1_sel:WORD_1
	v_fma_f16 v71, v59, v71, -v64
	v_mul_f16_sdwa v59, v87, v77 dst_sel:DWORD dst_unused:UNUSED_PAD src0_sel:DWORD src1_sel:WORD_1
	v_mul_f16_sdwa v86, v89, v77 dst_sel:DWORD dst_unused:UNUSED_PAD src0_sel:DWORD src1_sel:WORD_1
	v_fmac_f16_e32 v88, v67, v75
	v_mul_f16_sdwa v67, v63, v77 dst_sel:DWORD dst_unused:UNUSED_PAD src0_sel:DWORD src1_sel:WORD_1
	v_fma_f16 v75, v95, v75, -v110
	v_mul_f16_sdwa v110, v96, v77 dst_sel:DWORD dst_unused:UNUSED_PAD src0_sel:DWORD src1_sel:WORD_1
	v_fmac_f16_e32 v62, v55, v77
	v_fma_f16 v41, v97, v77, -v41
	v_mul_f16_sdwa v97, v90, v77 dst_sel:DWORD dst_unused:UNUSED_PAD src0_sel:DWORD src1_sel:WORD_1
	v_fma_f16 v68, v89, v77, -v68
	v_mul_f16_sdwa v89, v91, v76 dst_sel:DWORD dst_unused:UNUSED_PAD src0_sel:DWORD src1_sel:WORD_1
	v_mul_f16_sdwa v64, v45, v77 dst_sel:DWORD dst_unused:UNUSED_PAD src0_sel:DWORD src1_sel:WORD_1
	v_fmac_f16_e32 v59, v45, v77
	v_mul_f16_sdwa v45, v66, v76 dst_sel:DWORD dst_unused:UNUSED_PAD src0_sel:DWORD src1_sel:WORD_1
	v_mul_f16_sdwa v95, v44, v77 dst_sel:DWORD dst_unused:UNUSED_PAD src0_sel:DWORD src1_sel:WORD_1
	;; [unrolled: 1-line block ×3, first 2 shown]
	v_fmac_f16_e32 v86, v54, v77
	v_mul_f16_sdwa v54, v61, v77 dst_sel:DWORD dst_unused:UNUSED_PAD src0_sel:DWORD src1_sel:WORD_1
	v_fmac_f16_e32 v67, v44, v77
	v_fmac_f16_e32 v110, v60, v77
	;; [unrolled: 1-line block ×4, first 2 shown]
	v_sub_f16_e32 v44, v43, v62
	v_fma_f16 v66, v91, v76, -v45
	v_sub_f16_e32 v45, v57, v107
	v_fma_f16 v87, v87, v77, -v64
	v_fma_f16 v95, v63, v77, -v95
	;; [unrolled: 1-line block ×4, first 2 shown]
	v_sub_f16_e32 v54, v56, v86
	v_sub_f16_e32 v55, v42, v109
	;; [unrolled: 1-line block ×11, first 2 shown]
	v_fma_f16 v41, v43, 2.0, -v44
	v_fma_f16 v43, v57, 2.0, -v45
	ds_write_b16 v78, v44 offset:4
	v_fma_f16 v44, v56, 2.0, -v54
	v_fma_f16 v42, v42, 2.0, -v55
	v_fma_f16 v46, v46, 2.0, -v59
	v_fma_f16 v47, v47, 2.0, -v60
	v_fma_f16 v48, v48, 2.0, -v61
	v_fma_f16 v49, v49, 2.0, -v58
	v_fma_f16 v50, v50, 2.0, -v62
	v_fma_f16 v51, v51, 2.0, -v63
	v_fma_f16 v52, v52, 2.0, -v64
	v_fma_f16 v53, v53, 2.0, -v65
	v_fma_f16 v76, v98, 2.0, -v67
	ds_write_b16 v78, v41
	ds_write_b16 v83, v43
	ds_write_b16 v83, v45 offset:4
	ds_write_b16 v79, v44
	ds_write_b16 v79, v54 offset:4
	;; [unrolled: 2-line block ×11, first 2 shown]
	v_sub_f16_e32 v65, v94, v108
	v_sub_f16_e32 v68, v93, v68
	s_waitcnt lgkmcnt(0)
	s_barrier
	buffer_gl0_inv
	ds_read_u16 v41, v35
	ds_read_u16 v42, v31
	ds_read_u16 v53, v31 offset:1512
	ds_read_u16 v64, v31 offset:1638
	;; [unrolled: 1-line block ×11, first 2 shown]
	ds_read_u16 v43, v37
	ds_read_u16 v44, v38
	;; [unrolled: 1-line block ×10, first 2 shown]
	ds_read_u16 v63, v31 offset:2898
	s_waitcnt lgkmcnt(0)
	s_barrier
	buffer_gl0_inv
	v_fma_f16 v86, v94, 2.0, -v65
	ds_write_b16 v78, v76
	ds_write_b16 v78, v67 offset:4
	v_sub_f16_e32 v67, v92, v69
	v_fma_f16 v69, v93, 2.0, -v68
	ds_write_b16 v83, v86
	ds_write_b16 v83, v65 offset:4
	v_sub_f16_e32 v65, v99, v87
	;; [unrolled: 4-line block ×3, first 2 shown]
	ds_write_b16 v19, v76
	ds_write_b16 v19, v67 offset:4
	v_fma_f16 v69, v99, 2.0, -v65
	v_sub_f16_e32 v19, v101, v95
	v_fma_f16 v67, v100, 2.0, -v68
	ds_write_b16 v80, v65 offset:4
	v_sub_f16_e32 v66, v106, v66
	ds_write_b16 v80, v69
	v_sub_f16_e32 v69, v102, v71
	v_fma_f16 v65, v101, 2.0, -v19
	ds_write_b16 v84, v67
	ds_write_b16 v84, v68 offset:4
	v_sub_f16_e32 v68, v103, v96
	ds_write_b16 v81, v65
	ds_write_b16 v81, v19 offset:4
	v_fma_f16 v67, v102, 2.0, -v69
	v_sub_f16_e32 v19, v104, v75
	v_fma_f16 v65, v103, 2.0, -v68
	ds_write_b16 v85, v69 offset:4
	v_and_b32_e32 v76, 3, v20
	ds_write_b16 v85, v67
	v_sub_f16_e32 v67, v105, v77
	v_fma_f16 v69, v104, 2.0, -v19
	ds_write_b16 v82, v65
	ds_write_b16 v82, v68 offset:4
	ds_write_b16 v72, v69
	v_fma_f16 v68, v106, 2.0, -v66
	v_fma_f16 v65, v105, 2.0, -v67
	ds_write_b16 v72, v19 offset:4
	ds_write_b16 v73, v65
	ds_write_b16 v73, v67 offset:4
	v_and_b32_e32 v65, 3, v25
	ds_write_b16 v74, v68
	v_and_b32_e32 v67, 3, v24
	ds_write_b16 v74, v66 offset:4
	v_and_b32_e32 v66, 3, v21
	v_and_b32_e32 v68, 3, v28
	;; [unrolled: 1-line block ×3, first 2 shown]
	v_lshlrev_b32_e32 v19, 2, v65
	v_lshlrev_b32_e32 v70, 2, v67
	;; [unrolled: 1-line block ×4, first 2 shown]
	v_and_b32_e32 v74, 3, v27
	v_lshlrev_b32_e32 v73, 2, v69
	s_waitcnt lgkmcnt(0)
	s_barrier
	buffer_gl0_inv
	s_clause 0x3
	global_load_dword v75, v19, s[8:9] offset:8
	global_load_dword v70, v70, s[8:9] offset:8
	;; [unrolled: 1-line block ×4, first 2 shown]
	v_lshlrev_b32_e32 v19, 2, v74
	v_lshlrev_b32_e32 v77, 2, v5
	;; [unrolled: 1-line block ×3, first 2 shown]
	s_clause 0x3
	global_load_dword v73, v73, s[8:9] offset:8
	global_load_dword v79, v19, s[8:9] offset:8
	;; [unrolled: 1-line block ×4, first 2 shown]
	v_lshlrev_b32_e32 v19, 2, v4
	v_lshlrev_b32_e32 v80, 2, v3
	s_clause 0x1
	global_load_dword v81, v19, s[8:9] offset:8
	global_load_dword v80, v80, s[8:9] offset:8
	v_and_or_b32 v6, 0xf8, v6, v65
	v_and_or_b32 v8, 0x1f8, v8, v67
	;; [unrolled: 1-line block ×11, first 2 shown]
	ds_read_u16 v65, v31 offset:1638
	ds_read_u16 v66, v31 offset:1764
	;; [unrolled: 1-line block ×6, first 2 shown]
	ds_read_u16 v76, v35
	ds_read_u16 v82, v31 offset:2394
	ds_read_u16 v83, v31 offset:2520
	;; [unrolled: 1-line block ×5, first 2 shown]
	ds_read_u16 v16, v16
	ds_read_u16 v17, v17
	;; [unrolled: 1-line block ×4, first 2 shown]
	ds_read_u16 v89, v31 offset:1512
	ds_read_u16 v90, v31
	ds_read_u16 v91, v37
	ds_read_u16 v92, v38
	ds_read_u16 v93, v36
	ds_read_u16 v94, v39
	ds_read_u16 v9, v9
	ds_read_u16 v95, v40
	v_and_b32_e32 v19, 7, v20
	v_and_or_b32 v3, 0x5f8, v18, v3
	v_lshl_add_u32 v14, v14, 1, 0
	v_lshl_add_u32 v6, v6, 1, 0
	;; [unrolled: 1-line block ×3, first 2 shown]
	v_lshlrev_b32_e32 v18, 3, v19
	v_lshl_add_u32 v4, v4, 1, 0
	v_lshl_add_u32 v3, v3, 1, 0
	;; [unrolled: 1-line block ×9, first 2 shown]
	s_waitcnt vmcnt(0) lgkmcnt(0)
	s_barrier
	buffer_gl0_inv
	v_mul_f16_sdwa v96, v65, v75 dst_sel:DWORD dst_unused:UNUSED_PAD src0_sel:DWORD src1_sel:WORD_1
	v_mul_f16_sdwa v97, v64, v75 dst_sel:DWORD dst_unused:UNUSED_PAD src0_sel:DWORD src1_sel:WORD_1
	v_mul_f16_sdwa v98, v66, v70 dst_sel:DWORD dst_unused:UNUSED_PAD src0_sel:DWORD src1_sel:WORD_1
	v_mul_f16_sdwa v99, v62, v70 dst_sel:DWORD dst_unused:UNUSED_PAD src0_sel:DWORD src1_sel:WORD_1
	v_mul_f16_sdwa v100, v67, v71 dst_sel:DWORD dst_unused:UNUSED_PAD src0_sel:DWORD src1_sel:WORD_1
	v_mul_f16_sdwa v101, v61, v71 dst_sel:DWORD dst_unused:UNUSED_PAD src0_sel:DWORD src1_sel:WORD_1
	v_mul_f16_sdwa v102, v69, v72 dst_sel:DWORD dst_unused:UNUSED_PAD src0_sel:DWORD src1_sel:WORD_1
	v_mul_f16_sdwa v104, v68, v73 dst_sel:DWORD dst_unused:UNUSED_PAD src0_sel:DWORD src1_sel:WORD_1
	v_mul_f16_sdwa v108, v89, v78 dst_sel:DWORD dst_unused:UNUSED_PAD src0_sel:DWORD src1_sel:WORD_1
	v_mul_f16_sdwa v109, v53, v78 dst_sel:DWORD dst_unused:UNUSED_PAD src0_sel:DWORD src1_sel:WORD_1
	v_mul_f16_sdwa v106, v82, v79 dst_sel:DWORD dst_unused:UNUSED_PAD src0_sel:DWORD src1_sel:WORD_1
	v_fmac_f16_e32 v96, v64, v75
	v_fma_f16 v65, v65, v75, -v97
	v_mul_f16_sdwa v75, v83, v78 dst_sel:DWORD dst_unused:UNUSED_PAD src0_sel:DWORD src1_sel:WORD_1
	v_fmac_f16_e32 v98, v62, v70
	v_mul_f16_sdwa v62, v84, v77 dst_sel:DWORD dst_unused:UNUSED_PAD src0_sel:DWORD src1_sel:WORD_1
	v_fma_f16 v66, v66, v70, -v99
	v_mul_f16_sdwa v99, v85, v81 dst_sel:DWORD dst_unused:UNUSED_PAD src0_sel:DWORD src1_sel:WORD_1
	v_fmac_f16_e32 v100, v61, v71
	v_fma_f16 v67, v67, v71, -v101
	v_mul_f16_sdwa v71, v86, v80 dst_sel:DWORD dst_unused:UNUSED_PAD src0_sel:DWORD src1_sel:WORD_1
	v_mul_f16_sdwa v103, v58, v72 dst_sel:DWORD dst_unused:UNUSED_PAD src0_sel:DWORD src1_sel:WORD_1
	;; [unrolled: 1-line block ×10, first 2 shown]
	v_fmac_f16_e32 v108, v53, v78
	v_fma_f16 v53, v89, v78, -v109
	v_fmac_f16_e32 v102, v58, v72
	v_fmac_f16_e32 v104, v59, v73
	;; [unrolled: 1-line block ×7, first 2 shown]
	v_fma_f16 v58, v69, v72, -v103
	v_fma_f16 v59, v68, v73, -v105
	;; [unrolled: 1-line block ×3, first 2 shown]
	v_fmac_f16_e32 v110, v54, v78
	v_fma_f16 v54, v74, v78, -v64
	v_fma_f16 v55, v83, v78, -v97
	;; [unrolled: 1-line block ×5, first 2 shown]
	v_sub_f16_e32 v63, v42, v108
	v_sub_f16_e32 v78, v90, v53
	v_sub_f16_e32 v64, v52, v96
	v_sub_f16_e32 v79, v88, v65
	v_sub_f16_e32 v68, v51, v98
	v_sub_f16_e32 v72, v44, v102
	v_sub_f16_e32 v73, v45, v104
	v_sub_f16_e32 v74, v46, v106
	v_sub_f16_e32 v75, v47, v75
	v_sub_f16_e32 v62, v48, v62
	v_sub_f16_e32 v77, v49, v99
	v_sub_f16_e32 v71, v50, v71
	v_sub_f16_e32 v80, v87, v66
	v_sub_f16_e32 v69, v41, v100
	v_sub_f16_e32 v70, v43, v110
	v_sub_f16_e32 v81, v76, v67
	v_sub_f16_e32 v82, v91, v54
	v_sub_f16_e32 v83, v92, v58
	v_sub_f16_e32 v84, v93, v59
	v_sub_f16_e32 v85, v94, v60
	v_sub_f16_e32 v86, v95, v55
	v_sub_f16_e32 v89, v9, v56
	v_sub_f16_e32 v96, v16, v57
	v_sub_f16_e32 v97, v17, v61
	v_fma_f16 v42, v42, 2.0, -v63
	v_fma_f16 v90, v90, 2.0, -v78
	;; [unrolled: 1-line block ×13, first 2 shown]
	ds_write_b16 v14, v63 offset:8
	v_fma_f16 v41, v41, 2.0, -v69
	v_fma_f16 v43, v43, 2.0, -v70
	;; [unrolled: 1-line block ×11, first 2 shown]
	ds_write_b16 v14, v42
	ds_write_b16 v6, v52
	ds_write_b16 v6, v64 offset:8
	ds_write_b16 v8, v51
	ds_write_b16 v8, v68 offset:8
	;; [unrolled: 2-line block ×11, first 2 shown]
	s_waitcnt lgkmcnt(0)
	s_barrier
	buffer_gl0_inv
	ds_read_u16 v50, v32
	ds_read_u16 v49, v30
	;; [unrolled: 1-line block ×9, first 2 shown]
	ds_read_u16 v64, v31 offset:1134
	ds_read_u16 v62, v31 offset:1260
	;; [unrolled: 1-line block ×15, first 2 shown]
	s_waitcnt lgkmcnt(0)
	s_barrier
	buffer_gl0_inv
	ds_write_b16 v14, v90
	ds_write_b16 v14, v78 offset:8
	ds_write_b16 v6, v88
	ds_write_b16 v6, v79 offset:8
	;; [unrolled: 2-line block ×12, first 2 shown]
	s_waitcnt lgkmcnt(0)
	s_barrier
	buffer_gl0_inv
	global_load_dwordx2 v[3:4], v18, s[8:9] offset:24
	v_and_b32_e32 v72, 7, v25
	v_and_b32_e32 v73, 7, v24
	;; [unrolled: 1-line block ×5, first 2 shown]
	v_lshlrev_b32_e32 v5, 3, v72
	v_lshlrev_b32_e32 v7, 3, v73
	v_and_b32_e32 v77, 7, v26
	v_lshlrev_b32_e32 v9, 3, v74
	v_lshlrev_b32_e32 v11, 3, v75
	s_clause 0x1
	global_load_dwordx2 v[5:6], v5, s[8:9] offset:24
	global_load_dwordx2 v[7:8], v7, s[8:9] offset:24
	v_lshlrev_b32_e32 v13, 3, v76
	s_clause 0x1
	global_load_dwordx2 v[9:10], v9, s[8:9] offset:24
	global_load_dwordx2 v[11:12], v11, s[8:9] offset:24
	v_lshlrev_b32_e32 v15, 3, v77
	v_and_b32_e32 v78, 7, v27
	global_load_dwordx2 v[13:14], v13, s[8:9] offset:24
	v_lshrrev_b32_e32 v68, 3, v20
	v_lshrrev_b32_e32 v69, 3, v25
	global_load_dwordx2 v[17:18], v15, s[8:9] offset:24
	v_lshlrev_b32_e32 v15, 3, v78
	v_and_b32_e32 v83, 0xff, v20
	v_lshrrev_b32_e32 v79, 3, v29
	v_mul_u32_u24_e32 v68, 24, v68
	v_mul_lo_u32 v86, v69, 24
	global_load_dwordx2 v[15:16], v15, s[8:9] offset:24
	v_mul_lo_u16 v69, 0xab, v83
	v_lshrrev_b32_e32 v82, 3, v27
	v_mul_lo_u32 v79, v79, 24
	v_or_b32_e32 v19, v68, v19
	v_lshrrev_b32_e32 v70, 3, v24
	v_lshrrev_b16 v68, 12, v69
	v_mul_lo_u32 v82, v82, 24
	v_or_b32_e32 v72, v86, v72
	v_lshrrev_b32_e32 v71, 3, v21
	v_and_b32_e32 v84, 0xff, v25
	v_or_b32_e32 v75, v79, v75
	v_mul_lo_u16 v79, v68, 24
	v_and_b32_e32 v43, 0xff, v24
	v_lshrrev_b32_e32 v81, 3, v26
	v_or_b32_e32 v78, v82, v78
	v_lshl_add_u32 v82, v72, 1, 0
	v_sub_nc_u16 v72, v20, v79
	ds_read_u16 v79, v40
	v_mul_lo_u32 v87, v70, 24
	v_mul_lo_u32 v88, v71, 24
	v_mul_lo_u16 v70, 0xab, v84
	v_mul_lo_u16 v71, 0xab, v43
	v_mul_lo_u32 v81, v81, 24
	v_lshrrev_b32_e32 v80, 3, v28
	v_and_b32_e32 v42, 0xff, v21
	v_lshrrev_b16 v69, 12, v70
	v_lshrrev_b16 v70, 12, v71
	v_or_b32_e32 v74, v88, v74
	v_or_b32_e32 v73, v87, v73
	v_mul_lo_u32 v80, v80, 24
	v_or_b32_e32 v77, v81, v77
	v_mul_lo_u16 v81, v70, 24
	v_lshl_add_u32 v86, v74, 1, 0
	v_mul_lo_u16 v83, 0xab, v42
	v_lshl_add_u32 v19, v19, 1, 0
	v_mov_b32_e32 v85, 0xaaab
	v_sub_nc_u16 v74, v24, v81
	ds_read_u16 v81, v31 offset:2016
	ds_read_u16 v87, v31 offset:1134
	;; [unrolled: 1-line block ×8, first 2 shown]
	ds_read_u16 v94, v32
	ds_read_u16 v95, v30
	;; [unrolled: 1-line block ×7, first 2 shown]
	ds_read_u16 v102, v31 offset:2142
	ds_read_u16 v103, v31 offset:2268
	;; [unrolled: 1-line block ×7, first 2 shown]
	ds_read_u16 v110, v31
	v_lshrrev_b16 v71, 12, v83
	v_or_b32_e32 v76, v80, v76
	v_mul_lo_u16 v80, v69, 24
	v_lshl_add_u32 v83, v73, 1, 0
	v_lshl_add_u32 v75, v75, 1, 0
	;; [unrolled: 1-line block ×5, first 2 shown]
	s_waitcnt vmcnt(0) lgkmcnt(0)
	s_barrier
	buffer_gl0_inv
	v_mov_b32_e32 v41, 3
	v_mul_u32_u24_sdwa v84, v29, v85 dst_sel:DWORD dst_unused:UNUSED_PAD src0_sel:WORD_0 src1_sel:DWORD
	v_sub_nc_u16 v73, v25, v80
	v_mul_lo_u16 v42, v42, 57
	v_lshlrev_b32_sdwa v80, v41, v72 dst_sel:DWORD dst_unused:UNUSED_PAD src0_sel:DWORD src1_sel:BYTE_0
	v_mul_f16_sdwa v101, v79, v3 dst_sel:DWORD dst_unused:UNUSED_PAD src0_sel:DWORD src1_sel:WORD_1
	v_mul_f16_sdwa v109, v66, v3 dst_sel:DWORD dst_unused:UNUSED_PAD src0_sel:DWORD src1_sel:WORD_1
	v_fmac_f16_e32 v101, v66, v3
	v_mul_f16_sdwa v66, v81, v4 dst_sel:DWORD dst_unused:UNUSED_PAD src0_sel:DWORD src1_sel:WORD_1
	v_fma_f16 v3, v79, v3, -v109
	v_mul_f16_sdwa v79, v67, v4 dst_sel:DWORD dst_unused:UNUSED_PAD src0_sel:DWORD src1_sel:WORD_1
	v_fmac_f16_e32 v66, v67, v4
	v_mul_f16_sdwa v67, v87, v5 dst_sel:DWORD dst_unused:UNUSED_PAD src0_sel:DWORD src1_sel:WORD_1
	v_fma_f16 v4, v81, v4, -v79
	v_mul_f16_sdwa v79, v64, v5 dst_sel:DWORD dst_unused:UNUSED_PAD src0_sel:DWORD src1_sel:WORD_1
	v_mul_f16_sdwa v81, v102, v6 dst_sel:DWORD dst_unused:UNUSED_PAD src0_sel:DWORD src1_sel:WORD_1
	;; [unrolled: 1-line block ×3, first 2 shown]
	v_fmac_f16_e32 v67, v64, v5
	v_mul_f16_sdwa v64, v88, v7 dst_sel:DWORD dst_unused:UNUSED_PAD src0_sel:DWORD src1_sel:WORD_1
	v_fma_f16 v5, v87, v5, -v79
	v_mul_f16_sdwa v79, v62, v7 dst_sel:DWORD dst_unused:UNUSED_PAD src0_sel:DWORD src1_sel:WORD_1
	v_fmac_f16_e32 v81, v65, v6
	v_mul_f16_sdwa v65, v103, v8 dst_sel:DWORD dst_unused:UNUSED_PAD src0_sel:DWORD src1_sel:WORD_1
	v_mul_f16_sdwa v87, v63, v8 dst_sel:DWORD dst_unused:UNUSED_PAD src0_sel:DWORD src1_sel:WORD_1
	v_fma_f16 v6, v102, v6, -v109
	v_mul_f16_sdwa v102, v89, v9 dst_sel:DWORD dst_unused:UNUSED_PAD src0_sel:DWORD src1_sel:WORD_1
	v_fmac_f16_e32 v64, v62, v7
	v_mul_f16_sdwa v62, v104, v10 dst_sel:DWORD dst_unused:UNUSED_PAD src0_sel:DWORD src1_sel:WORD_1
	v_fma_f16 v7, v88, v7, -v79
	v_mul_f16_sdwa v79, v61, v10 dst_sel:DWORD dst_unused:UNUSED_PAD src0_sel:DWORD src1_sel:WORD_1
	v_fmac_f16_e32 v65, v63, v8
	v_mul_f16_sdwa v63, v90, v11 dst_sel:DWORD dst_unused:UNUSED_PAD src0_sel:DWORD src1_sel:WORD_1
	v_fma_f16 v8, v103, v8, -v87
	v_mul_f16_sdwa v88, v105, v12 dst_sel:DWORD dst_unused:UNUSED_PAD src0_sel:DWORD src1_sel:WORD_1
	v_mul_f16_sdwa v103, v59, v12 dst_sel:DWORD dst_unused:UNUSED_PAD src0_sel:DWORD src1_sel:WORD_1
	;; [unrolled: 1-line block ×4, first 2 shown]
	v_fmac_f16_e32 v102, v60, v9
	v_mul_f16_sdwa v60, v91, v13 dst_sel:DWORD dst_unused:UNUSED_PAD src0_sel:DWORD src1_sel:WORD_1
	v_fmac_f16_e32 v62, v61, v10
	v_mul_f16_sdwa v61, v106, v14 dst_sel:DWORD dst_unused:UNUSED_PAD src0_sel:DWORD src1_sel:WORD_1
	v_fma_f16 v10, v104, v10, -v79
	v_mul_f16_sdwa v104, v92, v17 dst_sel:DWORD dst_unused:UNUSED_PAD src0_sel:DWORD src1_sel:WORD_1
	v_fmac_f16_e32 v63, v58, v11
	v_mul_f16_sdwa v58, v107, v18 dst_sel:DWORD dst_unused:UNUSED_PAD src0_sel:DWORD src1_sel:WORD_1
	v_fmac_f16_e32 v88, v59, v12
	v_mul_f16_sdwa v59, v93, v15 dst_sel:DWORD dst_unused:UNUSED_PAD src0_sel:DWORD src1_sel:WORD_1
	v_fma_f16 v12, v105, v12, -v103
	v_mul_f16_sdwa v103, v108, v16 dst_sel:DWORD dst_unused:UNUSED_PAD src0_sel:DWORD src1_sel:WORD_1
	v_fma_f16 v9, v89, v9, -v109
	v_mul_f16_sdwa v89, v54, v13 dst_sel:DWORD dst_unused:UNUSED_PAD src0_sel:DWORD src1_sel:WORD_1
	v_mul_f16_sdwa v79, v57, v14 dst_sel:DWORD dst_unused:UNUSED_PAD src0_sel:DWORD src1_sel:WORD_1
	;; [unrolled: 1-line block ×3, first 2 shown]
	v_fma_f16 v11, v90, v11, -v87
	v_mul_f16_sdwa v87, v56, v18 dst_sel:DWORD dst_unused:UNUSED_PAD src0_sel:DWORD src1_sel:WORD_1
	v_mul_f16_sdwa v90, v52, v15 dst_sel:DWORD dst_unused:UNUSED_PAD src0_sel:DWORD src1_sel:WORD_1
	;; [unrolled: 1-line block ×3, first 2 shown]
	v_fmac_f16_e32 v60, v54, v13
	v_fmac_f16_e32 v61, v57, v14
	;; [unrolled: 1-line block ×6, first 2 shown]
	v_add_f16_e32 v53, v101, v66
	v_fma_f16 v13, v91, v13, -v89
	v_fma_f16 v14, v106, v14, -v79
	;; [unrolled: 1-line block ×6, first 2 shown]
	v_add_f16_e32 v52, v51, v101
	v_sub_f16_e32 v54, v101, v66
	v_add_f16_e32 v55, v110, v3
	v_add_f16_e32 v56, v3, v4
	;; [unrolled: 1-line block ×12, first 2 shown]
	v_fmac_f16_e32 v51, -0.5, v53
	v_add_f16_e32 v53, v5, v6
	v_sub_f16_e32 v3, v3, v4
	v_add_f16_e32 v105, v46, v60
	v_add_f16_e32 v108, v45, v104
	v_sub_f16_e32 v67, v67, v81
	v_sub_f16_e32 v64, v64, v65
	;; [unrolled: 1-line block ×3, first 2 shown]
	v_add_f16_e32 v52, v52, v66
	v_sub_f16_e32 v66, v5, v6
	v_add_f16_e32 v5, v94, v5
	v_add_f16_e32 v4, v55, v4
	;; [unrolled: 1-line block ×3, first 2 shown]
	v_fmac_f16_e32 v110, -0.5, v56
	v_sub_f16_e32 v56, v7, v8
	v_add_f16_e32 v7, v95, v7
	v_fmac_f16_e32 v50, -0.5, v57
	v_add_f16_e32 v57, v9, v10
	v_fmac_f16_e32 v49, -0.5, v87
	;; [unrolled: 2-line block ×5, first 2 shown]
	v_add_f16_e32 v106, v13, v14
	v_add_f16_e32 v79, v79, v81
	;; [unrolled: 1-line block ×9, first 2 shown]
	v_fmac_f16_e32 v47, -0.5, v92
	v_add_f16_e32 v92, v97, v11
	v_fmac_f16_e32 v44, -0.5, v107
	v_add_f16_e32 v107, v99, v17
	v_sub_f16_e32 v9, v9, v10
	v_sub_f16_e32 v11, v11, v12
	;; [unrolled: 1-line block ×5, first 2 shown]
	v_fmac_f16_e32 v94, -0.5, v53
	v_sub_f16_e32 v63, v63, v88
	v_sub_f16_e32 v60, v60, v61
	;; [unrolled: 1-line block ×4, first 2 shown]
	v_add_f16_e32 v5, v5, v6
	v_fmac_f16_e32 v95, -0.5, v55
	v_add_f16_e32 v6, v7, v8
	v_fmac_f16_e32 v96, -0.5, v57
	;; [unrolled: 2-line block ×4, first 2 shown]
	v_fmac_f16_e32 v99, -0.5, v81
	v_add_f16_e32 v14, v89, v16
	v_fmac_f16_e32 v100, -0.5, v91
	v_fmamk_f16 v16, v3, 0xbaee, v51
	v_fmac_f16_e32 v51, 0x3aee, v3
	v_fmamk_f16 v3, v54, 0x3aee, v110
	v_fmac_f16_e32 v110, 0xbaee, v54
	v_add_f16_e32 v8, v92, v12
	v_add_f16_e32 v12, v107, v18
	v_fmamk_f16 v18, v66, 0xbaee, v50
	v_add_f16_e32 v61, v105, v61
	v_add_f16_e32 v58, v108, v58
	v_fmac_f16_e32 v50, 0x3aee, v66
	v_fmamk_f16 v53, v56, 0xbaee, v49
	v_fmac_f16_e32 v49, 0x3aee, v56
	v_fmamk_f16 v54, v9, 0xbaee, v48
	;; [unrolled: 2-line block ×7, first 2 shown]
	v_add_f16_e32 v88, v93, v88
	v_add_f16_e32 v93, v109, v103
	ds_write_b16 v19, v52
	v_fmac_f16_e32 v94, 0xbaee, v67
	v_fmamk_f16 v81, v64, 0x3aee, v95
	v_fmac_f16_e32 v95, 0xbaee, v64
	v_fmamk_f16 v87, v102, 0x3aee, v96
	;; [unrolled: 2-line block ×6, first 2 shown]
	v_fmac_f16_e32 v100, 0xbaee, v59
	ds_write_b16 v19, v16 offset:16
	ds_write_b16 v19, v51 offset:32
	ds_write_b16 v82, v79
	ds_write_b16 v82, v18 offset:16
	ds_write_b16 v82, v50 offset:32
	ds_write_b16 v83, v65
	;; [unrolled: 3-line block ×7, first 2 shown]
	ds_write_b16 v78, v17 offset:16
	ds_write_b16 v78, v44 offset:32
	s_waitcnt lgkmcnt(0)
	s_barrier
	buffer_gl0_inv
	ds_read_u16 v50, v32
	ds_read_u16 v49, v30
	ds_read_u16 v48, v35
	ds_read_u16 v47, v37
	ds_read_u16 v46, v38
	ds_read_u16 v45, v36
	ds_read_u16 v66, v40
	ds_read_u16 v44, v39
	ds_read_u16 v51, v31
	ds_read_u16 v64, v31 offset:1134
	ds_read_u16 v62, v31 offset:1260
	;; [unrolled: 1-line block ×15, first 2 shown]
	s_waitcnt lgkmcnt(0)
	s_barrier
	buffer_gl0_inv
	ds_write_b16 v19, v4
	ds_write_b16 v19, v3 offset:16
	ds_write_b16 v19, v110 offset:32
	ds_write_b16 v82, v5
	ds_write_b16 v82, v15 offset:16
	ds_write_b16 v82, v94 offset:32
	;; [unrolled: 3-line block ×8, first 2 shown]
	v_mul_lo_u16 v6, v71, 24
	v_lshlrev_b32_sdwa v3, v41, v73 dst_sel:DWORD dst_unused:UNUSED_PAD src0_sel:DWORD src1_sel:BYTE_0
	v_lshlrev_b32_sdwa v7, v41, v74 dst_sel:DWORD dst_unused:UNUSED_PAD src0_sel:DWORD src1_sel:BYTE_0
	v_lshrrev_b32_e32 v76, 20, v84
	v_mul_u32_u24_sdwa v8, v28, v85 dst_sel:DWORD dst_unused:UNUSED_PAD src0_sel:WORD_0 src1_sel:DWORD
	v_sub_nc_u16 v75, v21, v6
	s_waitcnt lgkmcnt(0)
	s_barrier
	buffer_gl0_inv
	global_load_dwordx2 v[4:5], v80, s[8:9] offset:88
	v_lshlrev_b32_sdwa v6, v41, v75 dst_sel:DWORD dst_unused:UNUSED_PAD src0_sel:DWORD src1_sel:BYTE_0
	global_load_dwordx2 v[10:11], v3, s[8:9] offset:88
	v_lshrrev_b32_e32 v78, 20, v8
	global_load_dwordx2 v[8:9], v7, s[8:9] offset:88
	v_mul_u32_u24_sdwa v12, v26, v85 dst_sel:DWORD dst_unused:UNUSED_PAD src0_sel:WORD_0 src1_sel:DWORD
	global_load_dwordx2 v[6:7], v6, s[8:9] offset:88
	v_mul_lo_u16 v3, v76, 24
	v_mov_b32_e32 v84, 1
	v_add_nc_u32_e32 v87, -9, v20
	v_lshrrev_b32_e32 v80, 20, v12
	v_mul_u32_u24_sdwa v12, v27, v85 dst_sel:DWORD dst_unused:UNUSED_PAD src0_sel:WORD_0 src1_sel:DWORD
	v_sub_nc_u16 v77, v29, v3
	v_mul_lo_u16 v3, v78, 24
	v_lshlrev_b32_sdwa v72, v84, v72 dst_sel:DWORD dst_unused:UNUSED_PAD src0_sel:DWORD src1_sel:BYTE_0
	v_lshlrev_b32_sdwa v73, v84, v73 dst_sel:DWORD dst_unused:UNUSED_PAD src0_sel:DWORD src1_sel:BYTE_0
	v_lshrrev_b32_e32 v83, 20, v12
	v_lshlrev_b32_sdwa v13, v41, v77 dst_sel:DWORD dst_unused:UNUSED_PAD src0_sel:DWORD src1_sel:WORD_0
	v_sub_nc_u16 v79, v28, v3
	v_mul_lo_u16 v3, v80, 24
	v_lshlrev_b32_sdwa v74, v84, v74 dst_sel:DWORD dst_unused:UNUSED_PAD src0_sel:DWORD src1_sel:BYTE_0
	v_lshlrev_b32_sdwa v75, v84, v75 dst_sel:DWORD dst_unused:UNUSED_PAD src0_sel:DWORD src1_sel:BYTE_0
	global_load_dwordx2 v[16:17], v13, s[8:9] offset:88
	v_lshlrev_b32_sdwa v12, v41, v79 dst_sel:DWORD dst_unused:UNUSED_PAD src0_sel:DWORD src1_sel:WORD_0
	v_sub_nc_u16 v81, v26, v3
	v_mul_lo_u16 v3, v83, 24
	v_lshlrev_b32_sdwa v77, v84, v77 dst_sel:DWORD dst_unused:UNUSED_PAD src0_sel:DWORD src1_sel:WORD_0
	v_lshlrev_b32_sdwa v79, v84, v79 dst_sel:DWORD dst_unused:UNUSED_PAD src0_sel:DWORD src1_sel:WORD_0
	global_load_dwordx2 v[18:19], v12, s[8:9] offset:88
	v_lshlrev_b32_sdwa v12, v41, v81 dst_sel:DWORD dst_unused:UNUSED_PAD src0_sel:DWORD src1_sel:WORD_0
	v_sub_nc_u16 v82, v27, v3
	v_lshlrev_b32_sdwa v81, v84, v81 dst_sel:DWORD dst_unused:UNUSED_PAD src0_sel:DWORD src1_sel:WORD_0
	v_cndmask_b32_e64 v87, v87, v25, s0
	global_load_dwordx2 v[14:15], v12, s[8:9] offset:88
	v_lshlrev_b32_sdwa v3, v41, v82 dst_sel:DWORD dst_unused:UNUSED_PAD src0_sel:DWORD src1_sel:WORD_0
	v_lshlrev_b32_sdwa v82, v84, v82 dst_sel:DWORD dst_unused:UNUSED_PAD src0_sel:DWORD src1_sel:WORD_0
	global_load_dwordx2 v[12:13], v3, s[8:9] offset:88
	v_mov_b32_e32 v3, 0
	v_lshlrev_b64 v[85:86], 2, v[2:3]
	v_mov_b32_e32 v2, 0x90
	v_mul_u32_u24_sdwa v68, v68, v2 dst_sel:DWORD dst_unused:UNUSED_PAD src0_sel:WORD_0 src1_sel:DWORD
	v_mul_u32_u24_sdwa v69, v69, v2 dst_sel:DWORD dst_unused:UNUSED_PAD src0_sel:WORD_0 src1_sel:DWORD
	;; [unrolled: 1-line block ×4, first 2 shown]
	v_mul_u32_u24_e32 v71, 0x90, v76
	v_mul_u32_u24_e32 v76, 0x90, v78
	;; [unrolled: 1-line block ×4, first 2 shown]
	v_add3_u32 v68, 0, v68, v72
	v_add3_u32 v69, 0, v69, v73
	;; [unrolled: 1-line block ×8, first 2 shown]
	ds_read_u16 v75, v40
	ds_read_u16 v76, v31 offset:1134
	ds_read_u16 v77, v31 offset:1260
	;; [unrolled: 1-line block ×15, first 2 shown]
	ds_read_u16 v95, v31
	ds_read_u16 v96, v32
	;; [unrolled: 1-line block ×8, first 2 shown]
	s_waitcnt vmcnt(0) lgkmcnt(0)
	s_barrier
	buffer_gl0_inv
	v_add_co_u32 v85, s0, s8, v85
	v_add_co_ci_u32_e64 v86, s0, s9, v86, s0
	v_mul_f16_sdwa v103, v75, v4 dst_sel:DWORD dst_unused:UNUSED_PAD src0_sel:DWORD src1_sel:WORD_1
	v_mul_f16_sdwa v104, v66, v4 dst_sel:DWORD dst_unused:UNUSED_PAD src0_sel:DWORD src1_sel:WORD_1
	v_mul_f16_sdwa v105, v83, v5 dst_sel:DWORD dst_unused:UNUSED_PAD src0_sel:DWORD src1_sel:WORD_1
	v_mul_f16_sdwa v106, v67, v5 dst_sel:DWORD dst_unused:UNUSED_PAD src0_sel:DWORD src1_sel:WORD_1
	v_mul_f16_sdwa v107, v76, v10 dst_sel:DWORD dst_unused:UNUSED_PAD src0_sel:DWORD src1_sel:WORD_1
	v_mul_f16_sdwa v108, v64, v10 dst_sel:DWORD dst_unused:UNUSED_PAD src0_sel:DWORD src1_sel:WORD_1
	v_mul_f16_sdwa v109, v88, v11 dst_sel:DWORD dst_unused:UNUSED_PAD src0_sel:DWORD src1_sel:WORD_1
	v_fmac_f16_e32 v103, v66, v4
	v_mul_f16_sdwa v66, v77, v8 dst_sel:DWORD dst_unused:UNUSED_PAD src0_sel:DWORD src1_sel:WORD_1
	v_fma_f16 v4, v75, v4, -v104
	v_fmac_f16_e32 v105, v67, v5
	v_mul_f16_sdwa v67, v89, v9 dst_sel:DWORD dst_unused:UNUSED_PAD src0_sel:DWORD src1_sel:WORD_1
	v_fma_f16 v5, v83, v5, -v106
	v_mul_f16_sdwa v83, v63, v9 dst_sel:DWORD dst_unused:UNUSED_PAD src0_sel:DWORD src1_sel:WORD_1
	v_mul_f16_sdwa v104, v78, v6 dst_sel:DWORD dst_unused:UNUSED_PAD src0_sel:DWORD src1_sel:WORD_1
	v_fmac_f16_e32 v107, v64, v10
	v_mul_f16_sdwa v64, v90, v7 dst_sel:DWORD dst_unused:UNUSED_PAD src0_sel:DWORD src1_sel:WORD_1
	v_fma_f16 v10, v76, v10, -v108
	v_mul_f16_sdwa v76, v61, v7 dst_sel:DWORD dst_unused:UNUSED_PAD src0_sel:DWORD src1_sel:WORD_1
	v_mul_f16_sdwa v110, v65, v11 dst_sel:DWORD dst_unused:UNUSED_PAD src0_sel:DWORD src1_sel:WORD_1
	;; [unrolled: 1-line block ×4, first 2 shown]
	v_fmac_f16_e32 v109, v65, v11
	v_mul_f16_sdwa v65, v79, v16 dst_sel:DWORD dst_unused:UNUSED_PAD src0_sel:DWORD src1_sel:WORD_1
	v_mul_f16_sdwa v108, v91, v17 dst_sel:DWORD dst_unused:UNUSED_PAD src0_sel:DWORD src1_sel:WORD_1
	v_fmac_f16_e32 v66, v62, v8
	v_fmac_f16_e32 v67, v63, v9
	v_fma_f16 v9, v89, v9, -v83
	v_mul_f16_sdwa v62, v80, v18 dst_sel:DWORD dst_unused:UNUSED_PAD src0_sel:DWORD src1_sel:WORD_1
	v_mul_f16_sdwa v63, v92, v19 dst_sel:DWORD dst_unused:UNUSED_PAD src0_sel:DWORD src1_sel:WORD_1
	v_fmac_f16_e32 v104, v60, v6
	v_fmac_f16_e32 v64, v61, v7
	v_fma_f16 v7, v90, v7, -v76
	v_fma_f16 v11, v88, v11, -v110
	v_mul_f16_sdwa v83, v81, v14 dst_sel:DWORD dst_unused:UNUSED_PAD src0_sel:DWORD src1_sel:WORD_1
	v_mul_f16_sdwa v60, v93, v15 dst_sel:DWORD dst_unused:UNUSED_PAD src0_sel:DWORD src1_sel:WORD_1
	;; [unrolled: 1-line block ×4, first 2 shown]
	v_fma_f16 v8, v77, v8, -v75
	v_mul_f16_sdwa v75, v54, v18 dst_sel:DWORD dst_unused:UNUSED_PAD src0_sel:DWORD src1_sel:WORD_1
	v_mul_f16_sdwa v61, v82, v12 dst_sel:DWORD dst_unused:UNUSED_PAD src0_sel:DWORD src1_sel:WORD_1
	;; [unrolled: 1-line block ×5, first 2 shown]
	v_fma_f16 v6, v78, v6, -v106
	v_mul_f16_sdwa v78, v57, v15 dst_sel:DWORD dst_unused:UNUSED_PAD src0_sel:DWORD src1_sel:WORD_1
	v_mul_f16_sdwa v76, v52, v12 dst_sel:DWORD dst_unused:UNUSED_PAD src0_sel:DWORD src1_sel:WORD_1
	;; [unrolled: 1-line block ×3, first 2 shown]
	v_fmac_f16_e32 v65, v56, v16
	v_fmac_f16_e32 v108, v59, v17
	;; [unrolled: 1-line block ×8, first 2 shown]
	v_fma_f16 v16, v79, v16, -v88
	v_fma_f16 v17, v91, v17, -v110
	;; [unrolled: 1-line block ×6, first 2 shown]
	v_add_f16_e32 v52, v51, v103
	v_add_f16_e32 v53, v103, v105
	;; [unrolled: 1-line block ×6, first 2 shown]
	v_fma_f16 v12, v82, v12, -v76
	v_fma_f16 v13, v94, v13, -v106
	v_sub_f16_e32 v54, v103, v105
	v_add_f16_e32 v76, v104, v64
	v_add_f16_e32 v78, v65, v108
	;; [unrolled: 1-line block ×6, first 2 shown]
	v_sub_f16_e32 v4, v4, v5
	v_add_f16_e32 v58, v50, v107
	v_add_f16_e32 v77, v48, v104
	;; [unrolled: 1-line block ×3, first 2 shown]
	v_sub_f16_e32 v92, v107, v109
	v_sub_f16_e32 v93, v104, v64
	v_add_f16_e32 v104, v8, v9
	v_add_f16_e32 v107, v6, v7
	;; [unrolled: 1-line block ×5, first 2 shown]
	v_fmac_f16_e32 v51, -0.5, v53
	v_add_f16_e32 v5, v55, v5
	v_add_f16_e32 v55, v18, v19
	v_fmac_f16_e32 v50, -0.5, v57
	v_add_f16_e32 v57, v14, v15
	v_add_f16_e32 v75, v49, v66
	v_fmac_f16_e32 v95, -0.5, v56
	v_add_f16_e32 v56, v100, v18
	v_fmac_f16_e32 v49, -0.5, v59
	v_add_f16_e32 v59, v101, v14
	v_add_f16_e32 v79, v47, v65
	v_sub_f16_e32 v94, v10, v11
	v_add_f16_e32 v10, v96, v10
	v_add_f16_e32 v89, v45, v83
	;; [unrolled: 1-line block ×3, first 2 shown]
	v_sub_f16_e32 v106, v8, v9
	v_add_f16_e32 v8, v97, v8
	v_sub_f16_e32 v6, v6, v7
	v_add_f16_e32 v53, v99, v16
	v_sub_f16_e32 v16, v16, v17
	v_sub_f16_e32 v18, v18, v19
	v_fmac_f16_e32 v48, -0.5, v76
	v_add_f16_e32 v76, v12, v13
	v_fmac_f16_e32 v47, -0.5, v78
	v_add_f16_e32 v78, v102, v12
	v_sub_f16_e32 v14, v14, v15
	v_sub_f16_e32 v12, v12, v13
	v_fmac_f16_e32 v46, -0.5, v80
	v_fmac_f16_e32 v45, -0.5, v82
	v_fmac_f16_e32 v44, -0.5, v88
	v_fmac_f16_e32 v96, -0.5, v103
	v_sub_f16_e32 v66, v66, v67
	v_sub_f16_e32 v65, v65, v108
	;; [unrolled: 1-line block ×4, first 2 shown]
	v_add_f16_e32 v63, v81, v63
	v_fmac_f16_e32 v97, -0.5, v104
	v_fmac_f16_e32 v98, -0.5, v107
	v_add_f16_e32 v81, v110, v7
	v_fmac_f16_e32 v99, -0.5, v105
	v_fmac_f16_e32 v100, -0.5, v55
	;; [unrolled: 1-line block ×3, first 2 shown]
	v_fmamk_f16 v7, v4, 0xbaee, v51
	v_add_f16_e32 v55, v56, v19
	v_add_f16_e32 v56, v59, v15
	v_fmac_f16_e32 v51, 0x3aee, v4
	v_fmamk_f16 v59, v54, 0x3aee, v95
	v_add_f16_e32 v58, v58, v109
	v_fmac_f16_e32 v95, 0xbaee, v54
	v_add_f16_e32 v67, v75, v67
	v_add_f16_e32 v75, v79, v108
	;; [unrolled: 1-line block ×3, first 2 shown]
	v_fmamk_f16 v4, v94, 0xbaee, v50
	v_add_f16_e32 v80, v8, v9
	v_add_f16_e32 v57, v78, v13
	v_fmac_f16_e32 v50, 0x3aee, v94
	v_fmamk_f16 v8, v106, 0xbaee, v49
	v_fmac_f16_e32 v49, 0x3aee, v106
	v_fmamk_f16 v9, v6, 0xbaee, v48
	;; [unrolled: 2-line block ×7, first 2 shown]
	v_add_f16_e32 v64, v77, v64
	v_add_f16_e32 v60, v89, v60
	;; [unrolled: 1-line block ×4, first 2 shown]
	v_fmac_f16_e32 v102, -0.5, v76
	ds_write_b16 v68, v52
	v_fmac_f16_e32 v96, 0xbaee, v92
	v_fmamk_f16 v76, v66, 0x3aee, v97
	v_fmac_f16_e32 v97, 0xbaee, v66
	v_fmamk_f16 v66, v93, 0x3aee, v98
	;; [unrolled: 2-line block ×5, first 2 shown]
	v_fmac_f16_e32 v101, 0xbaee, v83
	ds_write_b16 v68, v7 offset:48
	ds_write_b16 v68, v51 offset:96
	ds_write_b16 v69, v58
	ds_write_b16 v69, v4 offset:48
	ds_write_b16 v69, v50 offset:96
	ds_write_b16 v70, v67
	;; [unrolled: 3-line block ×7, first 2 shown]
	ds_write_b16 v74, v13 offset:48
	ds_write_b16 v74, v44 offset:96
	s_waitcnt lgkmcnt(0)
	s_barrier
	buffer_gl0_inv
	ds_read_u16 v13, v32
	ds_read_u16 v12, v30
	;; [unrolled: 1-line block ×9, first 2 shown]
	ds_read_u16 v47, v31 offset:1134
	ds_read_u16 v45, v31 offset:1260
	;; [unrolled: 1-line block ×15, first 2 shown]
	s_waitcnt lgkmcnt(0)
	s_barrier
	buffer_gl0_inv
	ds_write_b16 v68, v5
	ds_write_b16 v68, v59 offset:48
	ds_write_b16 v68, v95 offset:96
	ds_write_b16 v69, v79
	ds_write_b16 v69, v54 offset:48
	ds_write_b16 v69, v96 offset:96
	;; [unrolled: 3-line block ×7, first 2 shown]
	v_mul_lo_u16 v5, v43, 57
	v_lshlrev_b32_e32 v2, 1, v87
	v_mov_b32_e32 v53, 0xe38f
	v_lshrrev_b16 v55, 12, v42
	v_sub_f16_e32 v61, v61, v90
	v_lshrrev_b16 v5, 12, v5
	v_lshlrev_b64 v[42:43], 2, v[2:3]
	v_mul_u32_u24_sdwa v56, v29, v53 dst_sel:DWORD dst_unused:UNUSED_PAD src0_sel:WORD_0 src1_sel:DWORD
	v_mul_u32_u24_sdwa v58, v28, v53 dst_sel:DWORD dst_unused:UNUSED_PAD src0_sel:WORD_0 src1_sel:DWORD
	;; [unrolled: 1-line block ×3, first 2 shown]
	v_mul_lo_u16 v54, 0x48, v5
	v_mul_u32_u24_sdwa v53, v26, v53 dst_sel:DWORD dst_unused:UNUSED_PAD src0_sel:WORD_0 src1_sel:DWORD
	v_lshrrev_b32_e32 v56, 22, v56
	v_lshrrev_b32_e32 v58, 22, v58
	v_fmamk_f16 v82, v61, 0x3aee, v102
	v_sub_nc_u16 v3, v24, v54
	v_mul_lo_u16 v54, 0x48, v55
	v_lshrrev_b32_e32 v60, 22, v60
	v_add_co_u32 v42, s0, s8, v42
	v_fmac_f16_e32 v102, 0xbaee, v61
	v_sub_nc_u16 v54, v21, v54
	ds_write_b16 v74, v57
	ds_write_b16 v74, v82 offset:48
	v_add_co_ci_u32_e64 v43, s0, s9, v43, s0
	v_lshlrev_b32_sdwa v57, v41, v3 dst_sel:DWORD dst_unused:UNUSED_PAD src0_sel:DWORD src1_sel:BYTE_0
	v_mul_lo_u16 v59, 0x48, v56
	v_lshlrev_b32_sdwa v61, v41, v54 dst_sel:DWORD dst_unused:UNUSED_PAD src0_sel:DWORD src1_sel:BYTE_0
	v_lshrrev_b32_e32 v53, 22, v53
	v_mul_lo_u16 v62, 0x48, v58
	v_mul_lo_u16 v60, 0x48, v60
	ds_write_b16 v74, v102 offset:96
	s_waitcnt lgkmcnt(0)
	s_barrier
	buffer_gl0_inv
	global_load_dwordx2 v[42:43], v[42:43], off offset:280
	v_sub_nc_u16 v59, v29, v59
	global_load_dwordx2 v[81:82], v57, s[8:9] offset:280
	v_sub_nc_u16 v62, v28, v62
	global_load_dwordx2 v[28:29], v61, s[8:9] offset:280
	v_mul_lo_u16 v57, 0x48, v53
	v_sub_nc_u16 v60, v27, v60
	v_lshlrev_b32_sdwa v63, v41, v59 dst_sel:DWORD dst_unused:UNUSED_PAD src0_sel:DWORD src1_sel:WORD_0
	v_lshlrev_b32_sdwa v61, v41, v62 dst_sel:DWORD dst_unused:UNUSED_PAD src0_sel:DWORD src1_sel:WORD_0
	global_load_dwordx2 v[79:80], v[85:86], off offset:280
	v_sub_nc_u16 v57, v26, v57
	v_and_b32_e32 v60, 0xffff, v60
	s_clause 0x1
	global_load_dwordx2 v[26:27], v63, s[8:9] offset:280
	global_load_dwordx2 v[92:93], v61, s[8:9] offset:280
	v_cmp_lt_u32_e64 s0, 8, v20
	v_lshlrev_b32_sdwa v41, v41, v57 dst_sel:DWORD dst_unused:UNUSED_PAD src0_sel:DWORD src1_sel:WORD_0
	v_lshlrev_b32_e32 v61, 3, v60
	s_clause 0x1
	global_load_dwordx2 v[94:95], v41, s[8:9] offset:280
	global_load_dwordx2 v[96:97], v61, s[8:9] offset:280
	v_cndmask_b32_e64 v41, 0, 0x1b0, s0
	v_mov_b32_e32 v61, 0x1b0
	v_mul_u32_u24_e32 v58, 0x1b0, v58
	v_mul_u32_u24_e32 v63, 0x1b0, v53
	v_lshlrev_b32_sdwa v3, v84, v3 dst_sel:DWORD dst_unused:UNUSED_PAD src0_sel:DWORD src1_sel:BYTE_0
	v_add3_u32 v2, 0, v41, v2
	v_mul_u32_u24_sdwa v5, v5, v61 dst_sel:DWORD dst_unused:UNUSED_PAD src0_sel:WORD_0 src1_sel:DWORD
	v_mul_u32_u24_sdwa v41, v55, v61 dst_sel:DWORD dst_unused:UNUSED_PAD src0_sel:WORD_0 src1_sel:DWORD
	v_mul_u32_u24_e32 v61, 0x1b0, v56
	v_lshlrev_b32_sdwa v53, v84, v54 dst_sel:DWORD dst_unused:UNUSED_PAD src0_sel:DWORD src1_sel:BYTE_0
	v_lshlrev_b32_sdwa v54, v84, v59 dst_sel:DWORD dst_unused:UNUSED_PAD src0_sel:DWORD src1_sel:WORD_0
	v_lshlrev_b32_sdwa v59, v84, v62 dst_sel:DWORD dst_unused:UNUSED_PAD src0_sel:DWORD src1_sel:WORD_0
	;; [unrolled: 1-line block ×3, first 2 shown]
	v_add3_u32 v56, 0, v5, v3
	v_add3_u32 v55, 0, v41, v53
	;; [unrolled: 1-line block ×5, first 2 shown]
	v_lshl_add_u32 v57, v60, 1, 0
	ds_read_u16 v40, v40
	ds_read_u16 v41, v31 offset:2016
	ds_read_u16 v83, v31 offset:2142
	;; [unrolled: 1-line block ×15, first 2 shown]
	ds_read_u16 v60, v37
	ds_read_u16 v59, v38
	;; [unrolled: 1-line block ×8, first 2 shown]
	s_waitcnt vmcnt(0) lgkmcnt(0)
	s_barrier
	buffer_gl0_inv
	v_cmp_gt_u32_e64 s0, 27, v20
	v_mul_f16_sdwa v75, v85, v42 dst_sel:DWORD dst_unused:UNUSED_PAD src0_sel:DWORD src1_sel:WORD_1
	v_mul_f16_sdwa v76, v83, v43 dst_sel:DWORD dst_unused:UNUSED_PAD src0_sel:DWORD src1_sel:WORD_1
	;; [unrolled: 1-line block ×17, first 2 shown]
	v_fmac_f16_e32 v77, v51, v79
	v_fmac_f16_e32 v78, v52, v80
	v_mul_f16_sdwa v65, v106, v94 dst_sel:DWORD dst_unused:UNUSED_PAD src0_sel:DWORD src1_sel:WORD_1
	v_mul_f16_sdwa v66, v101, v95 dst_sel:DWORD dst_unused:UNUSED_PAD src0_sel:DWORD src1_sel:WORD_1
	;; [unrolled: 1-line block ×13, first 2 shown]
	v_fma_f16 v91, v40, v79, -v35
	v_mul_f16_sdwa v35, v6, v96 dst_sel:DWORD dst_unused:UNUSED_PAD src0_sel:DWORD src1_sel:WORD_1
	v_fmac_f16_e32 v75, v47, v42
	v_fmac_f16_e32 v76, v50, v43
	;; [unrolled: 1-line block ×12, first 2 shown]
	v_fma_f16 v88, v41, v80, -v36
	v_mul_f16_sdwa v36, v16, v97 dst_sel:DWORD dst_unused:UNUSED_PAD src0_sel:DWORD src1_sel:WORD_1
	v_fmac_f16_e32 v51, v6, v96
	v_fmac_f16_e32 v52, v16, v97
	v_add_f16_e32 v6, v77, v78
	v_fma_f16 v90, v85, v42, -v37
	v_fma_f16 v89, v83, v43, -v38
	;; [unrolled: 1-line block ×13, first 2 shown]
	v_add_f16_e32 v18, v75, v76
	v_add_f16_e32 v26, v71, v73
	;; [unrolled: 1-line block ×6, first 2 shown]
	v_fma_f16 v16, v102, v97, -v36
	v_add_f16_e32 v7, v14, v77
	v_add_f16_e32 v41, v51, v52
	;; [unrolled: 1-line block ×3, first 2 shown]
	v_sub_f16_e32 v43, v91, v88
	v_fmac_f16_e32 v14, -0.5, v6
	v_add_f16_e32 v19, v13, v75
	v_add_f16_e32 v27, v12, v71
	;; [unrolled: 1-line block ×6, first 2 shown]
	v_sub_f16_e32 v44, v90, v89
	v_sub_f16_e32 v45, v87, v85
	;; [unrolled: 1-line block ×6, first 2 shown]
	v_fmac_f16_e32 v13, -0.5, v18
	v_fmac_f16_e32 v12, -0.5, v26
	;; [unrolled: 1-line block ×6, first 2 shown]
	v_sub_f16_e32 v82, v50, v16
	v_fmac_f16_e32 v4, -0.5, v41
	v_add_f16_e32 v18, v7, v78
	v_add_f16_e32 v28, v36, v69
	v_fmamk_f16 v36, v43, 0xbaee, v14
	v_fmac_f16_e32 v14, 0x3aee, v43
	v_add_f16_e32 v19, v19, v76
	v_add_f16_e32 v26, v27, v73
	;; [unrolled: 1-line block ×6, first 2 shown]
	v_fmamk_f16 v37, v44, 0xbaee, v13
	v_fmamk_f16 v38, v45, 0xbaee, v12
	v_fmamk_f16 v39, v46, 0xbaee, v11
	v_fmamk_f16 v40, v47, 0xbaee, v10
	v_fmamk_f16 v41, v48, 0xbaee, v9
	v_fmamk_f16 v42, v49, 0xbaee, v8
	v_fmac_f16_e32 v13, 0x3aee, v44
	v_fmac_f16_e32 v12, 0x3aee, v45
	;; [unrolled: 1-line block ×6, first 2 shown]
	v_fmamk_f16 v7, v82, 0xbaee, v4
	v_fmac_f16_e32 v4, 0x3aee, v82
	ds_write_b16 v31, v18
	ds_write_b16 v31, v36 offset:144
	ds_write_b16 v31, v14 offset:288
	ds_write_b16 v2, v19
	ds_write_b16 v2, v37 offset:144
	ds_write_b16 v2, v13 offset:288
	;; [unrolled: 3-line block ×7, first 2 shown]
	ds_write_b16 v57, v6 offset:2592
	ds_write_b16 v57, v7 offset:2736
	;; [unrolled: 1-line block ×3, first 2 shown]
	s_waitcnt lgkmcnt(0)
	s_barrier
	buffer_gl0_inv
	ds_read_u16 v26, v31
	ds_read_u16 v44, v31 offset:432
	ds_read_u16 v28, v31 offset:558
	;; [unrolled: 1-line block ×17, first 2 shown]
	ds_read_u16 v19, v30
	ds_read_u16 v18, v32
	ds_read_u16 v43, v31 offset:2844
	v_sub_nc_u32_e32 v8, 0, v34
                                        ; implicit-def: $vgpr9
                                        ; implicit-def: $vgpr10
                                        ; implicit-def: $vgpr11
	v_add_nc_u32_e32 v82, v33, v8
                                        ; implicit-def: $vgpr8
	s_and_saveexec_b32 s1, s0
	s_cbranch_execz .LBB0_15
; %bb.14:
	ds_read_u16 v7, v31 offset:810
	ds_read_u16 v4, v31 offset:1242
	ds_read_u16 v11, v31 offset:1674
	ds_read_u16 v9, v31 offset:2106
	ds_read_u16 v8, v31 offset:2538
	ds_read_u16 v6, v82
	ds_read_u16 v10, v31 offset:2970
.LBB0_15:
	s_or_b32 exec_lo, exec_lo, s1
	v_add_f16_e32 v12, v91, v88
	v_add_f16_e32 v13, v64, v91
	v_sub_f16_e32 v14, v77, v78
	v_add_f16_e32 v33, v90, v89
	v_sub_f16_e32 v34, v75, v76
	v_fmac_f16_e32 v64, -0.5, v12
	v_add_f16_e32 v12, v63, v90
	v_add_f16_e32 v75, v13, v88
	v_fmac_f16_e32 v63, -0.5, v33
	v_add_f16_e32 v13, v62, v87
	v_fmamk_f16 v33, v14, 0x3aee, v64
	v_fmac_f16_e32 v64, 0xbaee, v14
	v_add_f16_e32 v14, v12, v89
	v_add_f16_e32 v12, v87, v85
	v_fmamk_f16 v76, v34, 0x3aee, v63
	v_fmac_f16_e32 v63, 0xbaee, v34
	v_add_f16_e32 v34, v86, v84
	s_waitcnt lgkmcnt(0)
	v_fmac_f16_e32 v62, -0.5, v12
	v_sub_f16_e32 v12, v71, v73
	v_add_f16_e32 v71, v13, v85
	v_add_f16_e32 v13, v61, v86
	v_fmac_f16_e32 v61, -0.5, v34
	v_sub_f16_e32 v34, v72, v74
	v_fmamk_f16 v72, v12, 0x3aee, v62
	v_fmac_f16_e32 v62, 0xbaee, v12
	v_add_f16_e32 v12, v83, v80
	v_add_f16_e32 v73, v13, v84
	;; [unrolled: 1-line block ×3, first 2 shown]
	v_fmamk_f16 v74, v34, 0x3aee, v61
	v_fmac_f16_e32 v61, 0xbaee, v34
	v_add_f16_e32 v34, v81, v79
	v_fmac_f16_e32 v60, -0.5, v12
	v_sub_f16_e32 v12, v67, v69
	v_add_f16_e32 v67, v13, v80
	v_add_f16_e32 v13, v59, v81
	v_fmac_f16_e32 v59, -0.5, v34
	v_sub_f16_e32 v34, v68, v70
	v_fmamk_f16 v68, v12, 0x3aee, v60
	v_fmac_f16_e32 v60, 0xbaee, v12
	v_add_f16_e32 v12, v17, v15
	v_add_f16_e32 v69, v13, v79
	;; [unrolled: 1-line block ×4, first 2 shown]
	v_fmamk_f16 v70, v34, 0x3aee, v59
	v_fmac_f16_e32 v58, -0.5, v12
	v_sub_f16_e32 v12, v65, v66
	v_fmac_f16_e32 v59, 0xbaee, v34
	v_add_f16_e32 v34, v5, v50
	v_fmac_f16_e32 v5, -0.5, v13
	v_sub_f16_e32 v50, v51, v52
	v_add_f16_e32 v15, v17, v15
	v_fmamk_f16 v17, v12, 0x3aee, v58
	v_fmac_f16_e32 v58, 0xbaee, v12
	v_add_f16_e32 v12, v34, v16
	v_fmamk_f16 v13, v50, 0x3aee, v5
	v_fmac_f16_e32 v5, 0xbaee, v50
	s_barrier
	buffer_gl0_inv
	ds_write_b16 v31, v75
	ds_write_b16 v31, v33 offset:144
	ds_write_b16 v31, v64 offset:288
	ds_write_b16 v2, v14
	ds_write_b16 v2, v76 offset:144
	ds_write_b16 v2, v63 offset:288
	;; [unrolled: 3-line block ×7, first 2 shown]
	ds_write_b16 v57, v12 offset:2592
	ds_write_b16 v57, v13 offset:2736
	;; [unrolled: 1-line block ×3, first 2 shown]
	s_waitcnt lgkmcnt(0)
	s_barrier
	buffer_gl0_inv
	ds_read_u16 v34, v31
	ds_read_u16 v61, v31 offset:432
	ds_read_u16 v51, v31 offset:558
	;; [unrolled: 1-line block ×7, first 2 shown]
	ds_read_u16 v33, v30
	ds_read_u16 v64, v31 offset:1296
	ds_read_u16 v56, v31 offset:1116
	;; [unrolled: 1-line block ×10, first 2 shown]
	ds_read_u16 v30, v32
	ds_read_u16 v32, v31 offset:2844
                                        ; implicit-def: $vgpr14
                                        ; implicit-def: $vgpr16
                                        ; implicit-def: $vgpr15
                                        ; implicit-def: $vgpr17
	s_and_saveexec_b32 s1, s0
	s_cbranch_execz .LBB0_17
; %bb.16:
	ds_read_u16 v13, v31 offset:810
	ds_read_u16 v5, v31 offset:1242
	;; [unrolled: 1-line block ×5, first 2 shown]
	ds_read_u16 v12, v82
	ds_read_u16 v16, v31 offset:2970
.LBB0_17:
	s_or_b32 exec_lo, exec_lo, s1
	s_and_saveexec_b32 s1, vcc_lo
	s_cbranch_execz .LBB0_20
; %bb.18:
	v_mul_u32_u24_e32 v2, 6, v20
	v_mov_b32_e32 v3, 0
	v_add_nc_u32_e32 v95, 0xd8, v20
	v_add_nc_u32_e32 v96, 0x1b0, v20
	v_mad_u64_u32 v[83:84], null, s2, v20, 0
	v_lshlrev_b32_e32 v2, 2, v2
	v_mad_u64_u32 v[85:86], null, s2, v95, 0
	v_mad_u64_u32 v[87:88], null, s2, v96, 0
	s_clause 0x1
	global_load_dwordx4 v[67:70], v2, s[8:9] offset:856
	global_load_dwordx2 v[79:80], v2, s[8:9] offset:872
	v_mul_i32_i24_e32 v2, 6, v24
	v_add_nc_u32_e32 v97, 0x288, v20
	v_add_nc_u32_e32 v98, 0x360, v20
	v_mov_b32_e32 v31, v86
	v_lshlrev_b64 v[71:72], 2, v[2:3]
	v_mul_i32_i24_e32 v2, 6, v25
	v_mad_u64_u32 v[89:90], null, s2, v97, 0
	v_mad_u64_u32 v[91:92], null, s2, v98, 0
	v_lshlrev_b64 v[24:25], 2, v[2:3]
	v_add_co_u32 v75, vcc_lo, s8, v71
	v_add_co_ci_u32_e32 v76, vcc_lo, s9, v72, vcc_lo
	s_clause 0x1
	global_load_dwordx4 v[71:74], v[75:76], off offset:856
	global_load_dwordx2 v[81:82], v[75:76], off offset:872
	v_add_co_u32 v24, vcc_lo, s8, v24
	v_add_co_ci_u32_e32 v25, vcc_lo, s9, v25, vcc_lo
	s_clause 0x1
	global_load_dwordx4 v[75:78], v[24:25], off offset:856
	global_load_dwordx2 v[24:25], v[24:25], off offset:872
	v_mov_b32_e32 v2, v84
	v_mov_b32_e32 v84, v88
	v_add_co_u32 v0, vcc_lo, s12, v0
	v_add_co_ci_u32_e32 v1, vcc_lo, s13, v1, vcc_lo
	v_mad_u64_u32 v[93:94], null, s3, v20, v[2:3]
	s_waitcnt lgkmcnt(0)
	v_mad_u64_u32 v[94:95], null, s3, v95, v[31:32]
	v_mad_u64_u32 v[95:96], null, s3, v96, v[84:85]
	v_mov_b32_e32 v2, v90
	v_mov_b32_e32 v31, v92
	;; [unrolled: 1-line block ×3, first 2 shown]
	v_add_nc_u32_e32 v96, 0x438, v20
	v_mov_b32_e32 v86, v94
	v_mad_u64_u32 v[92:93], null, s3, v97, v[2:3]
	v_mov_b32_e32 v88, v95
	v_lshlrev_b64 v[83:84], 2, v[83:84]
	v_lshlrev_b64 v[85:86], 2, v[85:86]
	;; [unrolled: 1-line block ×3, first 2 shown]
	v_add_co_u32 v83, vcc_lo, v0, v83
	v_add_co_ci_u32_e32 v84, vcc_lo, v1, v84, vcc_lo
	v_add_co_u32 v85, vcc_lo, v0, v85
	v_add_co_ci_u32_e32 v86, vcc_lo, v1, v86, vcc_lo
	s_waitcnt vmcnt(5)
	v_mul_f16_sdwa v2, v61, v67 dst_sel:DWORD dst_unused:UNUSED_PAD src0_sel:DWORD src1_sel:WORD_1
	s_waitcnt vmcnt(4)
	v_mul_f16_sdwa v90, v62, v80 dst_sel:DWORD dst_unused:UNUSED_PAD src0_sel:DWORD src1_sel:WORD_1
	v_mul_f16_sdwa v93, v66, v70 dst_sel:DWORD dst_unused:UNUSED_PAD src0_sel:DWORD src1_sel:WORD_1
	;; [unrolled: 1-line block ×11, first 2 shown]
	v_fmac_f16_e32 v2, v44, v67
	v_fmac_f16_e32 v90, v45, v80
	;; [unrolled: 1-line block ×6, first 2 shown]
	v_fma_f16 v44, v62, v80, -v99
	v_fma_f16 v45, v61, v67, -v100
	;; [unrolled: 1-line block ×6, first 2 shown]
	s_waitcnt vmcnt(3)
	v_mul_f16_sdwa v61, v57, v71 dst_sel:DWORD dst_unused:UNUSED_PAD src0_sel:DWORD src1_sel:WORD_1
	s_waitcnt vmcnt(2)
	v_mul_f16_sdwa v62, v32, v82 dst_sel:DWORD dst_unused:UNUSED_PAD src0_sel:DWORD src1_sel:WORD_1
	v_mul_f16_sdwa v63, v59, v74 dst_sel:DWORD dst_unused:UNUSED_PAD src0_sel:DWORD src1_sel:WORD_1
	;; [unrolled: 1-line block ×11, first 2 shown]
	v_sub_f16_e32 v99, v2, v90
	v_sub_f16_e32 v100, v93, v94
	;; [unrolled: 1-line block ×3, first 2 shown]
	v_add_f16_e32 v102, v45, v44
	v_add_f16_e32 v103, v47, v46
	;; [unrolled: 1-line block ×6, first 2 shown]
	v_sub_f16_e32 v44, v45, v44
	v_sub_f16_e32 v45, v47, v46
	;; [unrolled: 1-line block ×3, first 2 shown]
	v_fmac_f16_e32 v61, v40, v71
	v_fmac_f16_e32 v62, v43, v82
	;; [unrolled: 1-line block ×6, first 2 shown]
	v_fma_f16 v32, v32, v82, -v67
	v_fma_f16 v38, v57, v71, -v68
	;; [unrolled: 1-line block ×6, first 2 shown]
	s_waitcnt vmcnt(1)
	v_mul_f16_sdwa v43, v51, v75 dst_sel:DWORD dst_unused:UNUSED_PAD src0_sel:DWORD src1_sel:WORD_1
	s_waitcnt vmcnt(0)
	v_mul_f16_sdwa v47, v54, v25 dst_sel:DWORD dst_unused:UNUSED_PAD src0_sel:DWORD src1_sel:WORD_1
	v_mul_f16_sdwa v48, v53, v78 dst_sel:DWORD dst_unused:UNUSED_PAD src0_sel:DWORD src1_sel:WORD_1
	;; [unrolled: 1-line block ×11, first 2 shown]
	v_sub_f16_e32 v70, v99, v100
	v_sub_f16_e32 v71, v100, v101
	v_add_f16_e32 v72, v100, v101
	v_sub_f16_e32 v73, v102, v103
	v_sub_f16_e32 v74, v103, v104
	v_add_f16_e32 v79, v102, v104
	;; [unrolled: 3-line block ×4, first 2 shown]
	v_sub_f16_e32 v97, v101, v99
	v_sub_f16_e32 v100, v104, v102
	;; [unrolled: 1-line block ×7, first 2 shown]
	v_add_f16_e32 v104, v38, v32
	v_add_f16_e32 v105, v40, v39
	;; [unrolled: 1-line block ×6, first 2 shown]
	v_fmac_f16_e32 v43, v28, v75
	v_fmac_f16_e32 v47, v29, v25
	;; [unrolled: 1-line block ×6, first 2 shown]
	v_fma_f16 v25, v54, v25, -v58
	v_fma_f16 v27, v51, v75, -v59
	v_fma_f16 v24, v55, v24, -v68
	v_fma_f16 v35, v50, v76, -v69
	v_sub_f16_e32 v32, v38, v32
	v_sub_f16_e32 v38, v40, v39
	;; [unrolled: 1-line block ×3, first 2 shown]
	v_fma_f16 v28, v52, v77, -v60
	v_fma_f16 v29, v53, v78, -v67
	v_add_f16_e32 v42, v103, v79
	v_mul_f16_e32 v50, 0x3a52, v80
	v_mul_f16_e32 v51, 0x2b26, v81
	v_add_f16_e32 v52, v90, v82
	v_mul_f16_e32 v53, 0x3846, v95
	v_mul_f16_e32 v54, 0xbb00, v46
	v_sub_f16_e32 v58, v101, v102
	v_sub_f16_e32 v64, v105, v106
	v_add_f16_e32 v65, v104, v106
	v_sub_f16_e32 v66, v61, v62
	v_sub_f16_e32 v67, v62, v63
	v_add_f16_e32 v68, v61, v63
	v_sub_f16_e32 v61, v63, v61
	v_sub_f16_e32 v63, v43, v47
	v_sub_f16_e32 v75, v48, v49
	v_add_f16_e32 v77, v27, v25
	v_add_f16_e32 v79, v35, v24
	;; [unrolled: 1-line block ×5, first 2 shown]
	v_mul_f16_e32 v36, 0x3846, v71
	v_add_f16_e32 v37, v99, v72
	v_mul_f16_e32 v40, 0x3a52, v73
	v_mul_f16_e32 v41, 0x2b26, v74
	v_add_f16_e32 v44, v44, v45
	v_mul_f16_e32 v45, 0xbb00, v97
	v_add_f16_e32 v59, v101, v102
	v_sub_f16_e32 v60, v104, v105
	v_sub_f16_e32 v69, v32, v38
	v_sub_f16_e32 v71, v38, v39
	v_add_f16_e32 v38, v38, v39
	v_sub_f16_e32 v72, v102, v93
	v_sub_f16_e32 v39, v39, v32
	v_sub_f16_e32 v76, v56, v57
	;; [unrolled: 4-line block ×3, first 2 shown]
	v_add_f16_e32 v34, v34, v42
	v_fmamk_f16 v35, v80, 0x3a52, v51
	v_add_f16_e32 v26, v26, v52
	v_fmamk_f16 v49, v94, 0xb574, v53
	v_fma_f16 v50, v2, 0xb9e0, -v50
	v_fma_f16 v54, v94, 0x3574, -v54
	;; [unrolled: 1-line block ×4, first 2 shown]
	v_mul_f16_e32 v51, 0x3846, v58
	v_mul_f16_e32 v57, 0x2b26, v64
	v_add_f16_e32 v58, v105, v65
	v_mul_f16_e32 v64, 0x2b26, v67
	v_add_f16_e32 v62, v62, v68
	v_add_f16_e32 v80, v77, v79
	;; [unrolled: 1-line block ×3, first 2 shown]
	v_sub_f16_e32 v55, v93, v101
	v_sub_f16_e32 v74, v106, v104
	v_fmamk_f16 v28, v70, 0xb574, v36
	v_fmamk_f16 v29, v73, 0x3a52, v41
	v_fma_f16 v45, v70, 0x3574, -v45
	v_fma_f16 v40, v100, 0xb9e0, -v40
	v_fma_f16 v41, v100, 0x39e0, -v41
	v_fma_f16 v36, v97, 0xbb00, -v36
	v_add_f16_e32 v53, v93, v59
	v_mul_f16_e32 v56, 0x3a52, v60
	v_mul_f16_e32 v59, 0x3a52, v66
	;; [unrolled: 1-line block ×3, first 2 shown]
	v_add_f16_e32 v32, v32, v38
	v_mul_f16_e32 v38, 0xbb00, v72
	v_mul_f16_e32 v67, 0xbb00, v39
	v_sub_f16_e32 v68, v63, v75
	v_sub_f16_e32 v70, v75, v76
	v_add_f16_e32 v71, v75, v76
	v_sub_f16_e32 v75, v78, v79
	v_sub_f16_e32 v81, v43, v47
	;; [unrolled: 1-line block ×5, first 2 shown]
	v_add_f16_e32 v27, v27, v24
	v_sub_f16_e32 v76, v76, v63
	v_sub_f16_e32 v43, v48, v43
	;; [unrolled: 1-line block ×3, first 2 shown]
	v_fmamk_f16 v42, v42, 0xbcab, v34
	v_fmamk_f16 v48, v52, 0xbcab, v26
	v_fmac_f16_e32 v49, 0xb70e, v44
	v_fmac_f16_e32 v54, 0xb70e, v44
	;; [unrolled: 1-line block ×3, first 2 shown]
	v_add_f16_e32 v44, v33, v58
	v_fmamk_f16 v33, v66, 0x3a52, v64
	v_add_f16_e32 v52, v19, v62
	v_add_f16_e32 v66, v78, v80
	;; [unrolled: 1-line block ×3, first 2 shown]
	v_sub_f16_e32 v73, v77, v78
	v_fmac_f16_e32 v28, 0xb70e, v37
	v_fmac_f16_e32 v45, 0xb70e, v37
	;; [unrolled: 1-line block ×3, first 2 shown]
	v_pack_b32_f16 v34, v26, v34
	v_fmamk_f16 v26, v55, 0xb574, v51
	v_fmamk_f16 v37, v60, 0x3a52, v57
	;; [unrolled: 1-line block ×3, first 2 shown]
	v_fma_f16 v38, v55, 0x3574, -v38
	v_fma_f16 v55, v74, 0xb9e0, -v56
	;; [unrolled: 1-line block ×8, first 2 shown]
	v_mul_f16_e32 v61, 0x3846, v70
	v_add_f16_e32 v63, v63, v71
	v_mul_f16_e32 v65, 0x2b26, v75
	v_mul_f16_e32 v67, 0x3a52, v81
	;; [unrolled: 1-line block ×4, first 2 shown]
	v_add_f16_e32 v25, v25, v27
	v_mul_f16_e32 v27, 0xbb00, v76
	v_mul_f16_e32 v71, 0xbb00, v24
	v_add_f16_e32 v29, v29, v42
	v_add_f16_e32 v35, v35, v48
	;; [unrolled: 1-line block ×6, first 2 shown]
	v_fmamk_f16 v42, v58, 0xbcab, v44
	v_fmamk_f16 v48, v62, 0xbcab, v52
	v_add_f16_e32 v58, v30, v66
	v_add_f16_e32 v62, v18, v47
	v_sub_f16_e32 v77, v79, v77
	v_mul_f16_e32 v64, 0x3a52, v73
	v_fmac_f16_e32 v26, 0xb70e, v53
	v_fmac_f16_e32 v19, 0xb70e, v32
	;; [unrolled: 1-line block ×6, first 2 shown]
	v_fmamk_f16 v32, v68, 0xb574, v61
	v_fmamk_f16 v53, v73, 0x3a52, v65
	v_fmamk_f16 v30, v81, 0x3a52, v69
	v_fmamk_f16 v18, v93, 0xb574, v70
	v_fma_f16 v27, v68, 0x3574, -v27
	v_fma_f16 v67, v43, 0xb9e0, -v67
	;; [unrolled: 1-line block ×5, first 2 shown]
	v_add_f16_e32 v69, v28, v29
	v_sub_f16_e32 v70, v35, v49
	v_add_f16_e32 v71, v45, v40
	v_sub_f16_e32 v73, v41, v36
	v_add_f16_e32 v74, v46, v2
	v_add_f16_e32 v36, v36, v41
	v_sub_f16_e32 v41, v2, v46
	v_sub_f16_e32 v2, v40, v45
	;; [unrolled: 1-line block ×3, first 2 shown]
	v_add_f16_e32 v29, v49, v35
	v_add_f16_e32 v35, v37, v42
	;; [unrolled: 1-line block ×7, first 2 shown]
	v_fmamk_f16 v48, v66, 0xbcab, v58
	v_fmamk_f16 v47, v47, 0xbcab, v62
	v_fma_f16 v64, v77, 0xb9e0, -v64
	v_sub_f16_e32 v72, v50, v54
	v_add_f16_e32 v40, v54, v50
	v_fmac_f16_e32 v32, 0xb70e, v63
	v_fmac_f16_e32 v18, 0xb70e, v25
	v_fmac_f16_e32 v68, 0xb70e, v25
	v_fmac_f16_e32 v24, 0xb70e, v25
	v_sub_f16_e32 v50, v33, v19
	v_sub_f16_e32 v56, v42, v51
	v_add_f16_e32 v42, v51, v42
	v_add_f16_e32 v51, v19, v33
	;; [unrolled: 1-line block ×4, first 2 shown]
	v_fma_f16 v65, v77, 0x39e0, -v65
	v_fmac_f16_e32 v27, 0xb70e, v63
	v_pack_b32_f16 v28, v29, v28
	v_add_f16_e32 v49, v26, v35
	v_add_f16_e32 v57, v39, v46
	v_sub_f16_e32 v39, v46, v39
	v_sub_f16_e32 v46, v35, v26
	v_add_f16_e32 v26, v64, v48
	v_add_f16_e32 v29, v67, v47
	v_add_f16_e32 v33, v43, v47
	v_add_f16_e32 v43, v32, v19
	v_sub_f16_e32 v47, v25, v18
	v_sub_f16_e32 v66, v19, v32
	v_add_f16_e32 v67, v18, v25
	v_mad_u64_u32 v[18:19], null, s2, v96, 0
	v_fma_f16 v61, v76, 0xbb00, -v61
	v_add_f16_e32 v30, v65, v48
	v_add_f16_e32 v48, v27, v26
	v_sub_f16_e32 v64, v26, v27
	v_mad_u64_u32 v[26:27], null, s3, v98, v[31:32]
	v_fmac_f16_e32 v61, 0xb70e, v63
	v_add_f16_e32 v60, v24, v33
	v_sub_f16_e32 v63, v33, v24
	v_add_co_u32 v24, vcc_lo, v0, v87
	v_add_co_ci_u32_e32 v25, vcc_lo, v1, v88, vcc_lo
	v_pack_b32_f16 v27, v40, v2
	v_mov_b32_e32 v2, v19
	v_mov_b32_e32 v90, v92
	global_store_dword v[83:84], v34, off
	global_store_dword v[85:86], v28, off
	v_mov_b32_e32 v92, v26
	global_store_dword v[24:25], v27, off
	v_mad_u64_u32 v[26:27], null, s3, v96, v[2:3]
	v_add_nc_u32_e32 v33, 0x510, v20
	v_sub_f16_e32 v55, v45, v59
	v_add_f16_e32 v45, v59, v45
	v_sub_f16_e32 v53, v29, v68
	v_sub_f16_e32 v59, v30, v61
	v_add_f16_e32 v61, v61, v30
	v_add_f16_e32 v65, v68, v29
	v_lshlrev_b64 v[24:25], 2, v[89:90]
	v_mad_u64_u32 v[29:30], null, s2, v33, 0
	v_mov_b32_e32 v19, v26
	v_lshlrev_b64 v[27:28], 2, v[91:92]
	v_mad_u64_u32 v[31:32], null, s2, v23, 0
	v_add_co_u32 v24, vcc_lo, v0, v24
	v_lshlrev_b64 v[18:19], 2, v[18:19]
	v_add_co_ci_u32_e32 v25, vcc_lo, v1, v25, vcc_lo
	v_mov_b32_e32 v2, v30
	v_pack_b32_f16 v40, v41, v36
	v_add_co_u32 v26, vcc_lo, v0, v27
	v_add_nc_u32_e32 v41, 0x117, v20
	v_add_co_ci_u32_e32 v27, vcc_lo, v1, v28, vcc_lo
	v_add_co_u32 v18, vcc_lo, v0, v18
	v_pack_b32_f16 v28, v74, v73
	v_mad_u64_u32 v[33:34], null, s3, v33, v[2:3]
	v_add_co_ci_u32_e32 v19, vcc_lo, v1, v19, vcc_lo
	v_mov_b32_e32 v2, v32
	v_pack_b32_f16 v32, v72, v71
	v_mad_u64_u32 v[34:35], null, s2, v41, 0
	global_store_dword v[24:25], v40, off
	global_store_dword v[26:27], v28, off
	;; [unrolled: 1-line block ×3, first 2 shown]
	v_add_nc_u32_e32 v28, 0x1ef, v20
	v_add_f16_e32 v54, v38, v37
	v_sub_f16_e32 v38, v37, v38
	v_mad_u64_u32 v[36:37], null, s3, v23, v[2:3]
	v_mov_b32_e32 v2, v35
	v_mad_u64_u32 v[23:24], null, s2, v28, 0
	v_mov_b32_e32 v30, v33
	v_add_nc_u32_e32 v37, 0x2c7, v20
	v_mad_u64_u32 v[25:26], null, s3, v41, v[2:3]
	v_mov_b32_e32 v32, v36
	v_lshlrev_b64 v[18:19], 2, v[29:30]
	v_mov_b32_e32 v2, v24
	v_add_nc_u32_e32 v40, 0x39f, v20
	v_pack_b32_f16 v36, v70, v69
	v_lshlrev_b64 v[26:27], 2, v[31:32]
	v_mov_b32_e32 v35, v25
	v_mad_u64_u32 v[24:25], null, s3, v28, v[2:3]
	v_mad_u64_u32 v[28:29], null, s2, v37, 0
	;; [unrolled: 1-line block ×3, first 2 shown]
	v_add_co_u32 v18, vcc_lo, v0, v18
	v_lshlrev_b64 v[30:31], 2, v[34:35]
	v_add_co_ci_u32_e32 v19, vcc_lo, v1, v19, vcc_lo
	v_mov_b32_e32 v2, v29
	v_add_co_u32 v25, vcc_lo, v0, v26
	v_lshlrev_b64 v[23:24], 2, v[23:24]
	v_add_co_ci_u32_e32 v26, vcc_lo, v1, v27, vcc_lo
	v_mad_u64_u32 v[34:35], null, s3, v37, v[2:3]
	v_mov_b32_e32 v2, v33
	v_add_co_u32 v30, vcc_lo, v0, v30
	v_add_co_ci_u32_e32 v31, vcc_lo, v1, v31, vcc_lo
	v_pack_b32_f16 v27, v62, v58
	v_mov_b32_e32 v29, v34
	v_mad_u64_u32 v[33:34], null, s3, v40, v[2:3]
	v_lshrrev_b32_e32 v2, 3, v22
	v_add_co_u32 v23, vcc_lo, v0, v23
	v_pack_b32_f16 v35, v67, v66
	v_add_co_ci_u32_e32 v24, vcc_lo, v1, v24, vcc_lo
	v_pack_b32_f16 v37, v65, v64
	global_store_dword v[18:19], v36, off
	global_store_dword v[25:26], v27, off
	;; [unrolled: 1-line block ×4, first 2 shown]
	v_add_nc_u32_e32 v31, 0x477, v20
	v_mul_hi_u32 v2, 0x97b425f, v2
	v_add_nc_u32_e32 v34, 0x54f, v20
	v_lshlrev_b64 v[18:19], 2, v[28:29]
	v_lshlrev_b64 v[27:28], 2, v[32:33]
	v_mad_u64_u32 v[23:24], null, s2, v31, 0
	v_mad_u64_u32 v[25:26], null, s2, v34, 0
	v_mad_u32_u24 v36, 0x510, v2, v22
	v_add_co_u32 v18, vcc_lo, v0, v18
	v_add_co_ci_u32_e32 v19, vcc_lo, v1, v19, vcc_lo
	v_mov_b32_e32 v2, v24
	v_mad_u64_u32 v[29:30], null, s2, v36, 0
	v_mov_b32_e32 v22, v26
	v_add_co_u32 v27, vcc_lo, v0, v27
	v_mad_u64_u32 v[31:32], null, s3, v31, v[2:3]
	v_mad_u64_u32 v[32:33], null, s3, v34, v[22:23]
	v_mov_b32_e32 v2, v30
	v_pack_b32_f16 v35, v63, v61
	v_add_co_ci_u32_e32 v28, vcc_lo, v1, v28, vcc_lo
	v_mov_b32_e32 v24, v31
	v_mad_u64_u32 v[30:31], null, s3, v36, v[2:3]
	v_pack_b32_f16 v22, v60, v59
	v_mov_b32_e32 v26, v32
	v_add_nc_u32_e32 v31, 0xd8, v36
	global_store_dword v[18:19], v35, off
	v_lshlrev_b64 v[18:19], 2, v[23:24]
	global_store_dword v[27:28], v22, off
	v_lshlrev_b64 v[22:23], 2, v[25:26]
	v_mad_u64_u32 v[24:25], null, s2, v31, 0
	v_lshlrev_b64 v[26:27], 2, v[29:30]
	v_add_co_u32 v18, vcc_lo, v0, v18
	v_add_co_ci_u32_e32 v19, vcc_lo, v1, v19, vcc_lo
	v_add_co_u32 v22, vcc_lo, v0, v22
	v_mov_b32_e32 v2, v25
	v_pack_b32_f16 v32, v53, v48
	v_add_co_ci_u32_e32 v23, vcc_lo, v1, v23, vcc_lo
	v_add_co_u32 v26, vcc_lo, v0, v26
	v_mad_u64_u32 v[28:29], null, s3, v31, v[2:3]
	v_pack_b32_f16 v2, v47, v43
	global_store_dword v[18:19], v32, off
	v_add_nc_u32_e32 v30, 0x288, v36
	v_add_co_ci_u32_e32 v27, vcc_lo, v1, v27, vcc_lo
	global_store_dword v[22:23], v2, off
	v_mov_b32_e32 v25, v28
	v_add_nc_u32_e32 v28, 0x1b0, v36
	v_pack_b32_f16 v29, v52, v44
	v_add_nc_u32_e32 v32, 0x360, v36
	v_add_nc_u32_e32 v33, 0x438, v36
	v_lshlrev_b64 v[18:19], 2, v[24:25]
	v_mad_u64_u32 v[22:23], null, s2, v28, 0
	v_mad_u64_u32 v[24:25], null, s2, v30, 0
	global_store_dword v[26:27], v29, off
	v_mad_u64_u32 v[26:27], null, s2, v32, 0
	v_add_co_u32 v18, vcc_lo, v0, v18
	v_mov_b32_e32 v2, v23
	v_mov_b32_e32 v23, v25
	v_add_co_ci_u32_e32 v19, vcc_lo, v1, v19, vcc_lo
	v_pack_b32_f16 v25, v51, v46
	v_mad_u64_u32 v[28:29], null, s3, v28, v[2:3]
	v_mov_b32_e32 v2, v27
	v_mad_u64_u32 v[29:30], null, s3, v30, v[23:24]
	v_mad_u64_u32 v[30:31], null, s2, v33, 0
	global_store_dword v[18:19], v25, off
	v_mov_b32_e32 v23, v28
	v_mad_u64_u32 v[27:28], null, s3, v32, v[2:3]
	v_add_nc_u32_e32 v32, 0x510, v36
	v_mov_b32_e32 v25, v29
	v_lshlrev_b64 v[18:19], 2, v[22:23]
	v_mov_b32_e32 v2, v31
	v_pack_b32_f16 v34, v45, v38
	v_mad_u64_u32 v[22:23], null, s2, v32, 0
	v_mad_u64_u32 v[28:29], null, s3, v33, v[2:3]
	v_add_co_u32 v18, vcc_lo, v0, v18
	v_add_co_ci_u32_e32 v19, vcc_lo, v1, v19, vcc_lo
	v_mov_b32_e32 v2, v23
	v_lshlrev_b64 v[23:24], 2, v[24:25]
	v_mov_b32_e32 v31, v28
	v_lshlrev_b64 v[25:26], 2, v[26:27]
	v_mad_u64_u32 v[32:33], null, s3, v32, v[2:3]
	v_add_co_u32 v27, vcc_lo, v0, v23
	v_lshlrev_b64 v[29:30], 2, v[30:31]
	v_add_co_ci_u32_e32 v28, vcc_lo, v1, v24, vcc_lo
	v_add_co_u32 v24, vcc_lo, v0, v25
	v_mov_b32_e32 v23, v32
	v_add_co_ci_u32_e32 v25, vcc_lo, v1, v26, vcc_lo
	v_add_co_u32 v29, vcc_lo, v0, v29
	v_lshlrev_b64 v[22:23], 2, v[22:23]
	v_pack_b32_f16 v2, v39, v42
	v_add_co_ci_u32_e32 v30, vcc_lo, v1, v30, vcc_lo
	v_pack_b32_f16 v26, v57, v56
	v_pack_b32_f16 v31, v55, v54
	v_add_co_u32 v22, vcc_lo, v0, v22
	v_add_co_ci_u32_e32 v23, vcc_lo, v1, v23, vcc_lo
	v_pack_b32_f16 v32, v50, v49
	global_store_dword v[18:19], v34, off
	global_store_dword v[27:28], v2, off
	;; [unrolled: 1-line block ×5, first 2 shown]
	s_and_b32 exec_lo, exec_lo, s0
	s_cbranch_execz .LBB0_20
; %bb.19:
	v_subrev_nc_u32_e32 v2, 27, v20
	v_add_nc_u32_e32 v38, 0x195, v20
	v_add_nc_u32_e32 v37, 0xbd, v20
	v_add_nc_u32_e32 v39, 0x26d, v20
	v_add_nc_u32_e32 v40, 0x345, v20
	v_cndmask_b32_e64 v2, v2, v21, s0
	v_add_nc_u32_e32 v41, 0x41d, v20
	v_add_nc_u32_e32 v42, 0x4f5, v20
	;; [unrolled: 1-line block ×3, first 2 shown]
	v_mad_u64_u32 v[25:26], null, s2, v38, 0
	v_mul_i32_i24_e32 v2, 6, v2
	v_mad_u64_u32 v[18:19], null, s2, v37, 0
	v_mad_u64_u32 v[27:28], null, s2, v39, 0
	v_lshlrev_b64 v[2:3], 2, v[2:3]
	v_mad_u64_u32 v[29:30], null, s2, v40, 0
	v_mad_u64_u32 v[31:32], null, s2, v41, 0
	v_mad_u64_u32 v[33:34], null, s2, v42, 0
	v_add_co_u32 v2, vcc_lo, s8, v2
	v_add_co_ci_u32_e32 v3, vcc_lo, s9, v3, vcc_lo
	v_mad_u64_u32 v[35:36], null, s2, v43, 0
	s_clause 0x1
	global_load_dwordx4 v[21:24], v[2:3], off offset:856
	global_load_dwordx2 v[2:3], v[2:3], off offset:872
	v_mov_b32_e32 v20, v26
	v_mov_b32_e32 v26, v28
	;; [unrolled: 1-line block ×6, first 2 shown]
	v_mad_u64_u32 v[36:37], null, s3, v37, v[19:20]
	v_mov_b32_e32 v19, v36
	v_lshlrev_b64 v[18:19], 2, v[18:19]
	v_add_co_u32 v18, vcc_lo, v0, v18
	v_add_co_ci_u32_e32 v19, vcc_lo, v1, v19, vcc_lo
	s_waitcnt vmcnt(1)
	v_mad_u64_u32 v[37:38], null, s3, v38, v[20:21]
	v_mad_u64_u32 v[38:39], null, s3, v39, v[26:27]
	;; [unrolled: 1-line block ×4, first 2 shown]
	v_mov_b32_e32 v26, v37
	v_mad_u64_u32 v[41:42], null, s3, v42, v[32:33]
	v_mov_b32_e32 v28, v38
	v_mov_b32_e32 v30, v39
	v_lshlrev_b64 v[25:26], 2, v[25:26]
	v_mad_u64_u32 v[42:43], null, s3, v43, v[34:35]
	v_lshlrev_b64 v[27:28], 2, v[27:28]
	v_mov_b32_e32 v32, v40
	v_lshlrev_b64 v[29:30], 2, v[29:30]
	v_add_co_u32 v25, vcc_lo, v0, v25
	v_mov_b32_e32 v34, v41
	v_add_co_ci_u32_e32 v26, vcc_lo, v1, v26, vcc_lo
	v_lshlrev_b64 v[31:32], 2, v[31:32]
	v_add_co_u32 v27, vcc_lo, v0, v27
	v_mov_b32_e32 v36, v42
	v_add_co_ci_u32_e32 v28, vcc_lo, v1, v28, vcc_lo
	v_lshlrev_b64 v[33:34], 2, v[33:34]
	v_add_co_u32 v29, vcc_lo, v0, v29
	v_add_co_ci_u32_e32 v30, vcc_lo, v1, v30, vcc_lo
	v_lshlrev_b64 v[35:36], 2, v[35:36]
	v_add_co_u32 v31, vcc_lo, v0, v31
	v_add_co_ci_u32_e32 v32, vcc_lo, v1, v32, vcc_lo
	v_add_co_u32 v33, vcc_lo, v0, v33
	v_add_co_ci_u32_e32 v34, vcc_lo, v1, v34, vcc_lo
	;; [unrolled: 2-line block ×3, first 2 shown]
	v_mul_f16_sdwa v20, v13, v21 dst_sel:DWORD dst_unused:UNUSED_PAD src0_sel:DWORD src1_sel:WORD_1
	v_mul_f16_sdwa v35, v7, v21 dst_sel:DWORD dst_unused:UNUSED_PAD src0_sel:DWORD src1_sel:WORD_1
	;; [unrolled: 1-line block ×4, first 2 shown]
	s_waitcnt vmcnt(0)
	v_mul_f16_sdwa v42, v15, v2 dst_sel:DWORD dst_unused:UNUSED_PAD src0_sel:DWORD src1_sel:WORD_1
	v_mul_f16_sdwa v43, v8, v2 dst_sel:DWORD dst_unused:UNUSED_PAD src0_sel:DWORD src1_sel:WORD_1
	;; [unrolled: 1-line block ×8, first 2 shown]
	v_fmac_f16_e32 v20, v7, v21
	v_fma_f16 v7, v13, v21, -v35
	v_fmac_f16_e32 v36, v4, v22
	v_fma_f16 v4, v5, v22, -v37
	;; [unrolled: 2-line block ×6, first 2 shown]
	v_add_f16_e32 v8, v20, v44
	v_add_f16_e32 v10, v7, v3
	v_sub_f16_e32 v3, v7, v3
	v_add_f16_e32 v7, v36, v42
	v_add_f16_e32 v13, v4, v2
	v_sub_f16_e32 v14, v36, v42
	v_sub_f16_e32 v2, v4, v2
	v_add_f16_e32 v4, v38, v40
	v_add_f16_e32 v15, v5, v9
	v_sub_f16_e32 v16, v40, v38
	;; [unrolled: 4-line block ×3, first 2 shown]
	v_sub_f16_e32 v20, v7, v8
	v_sub_f16_e32 v21, v13, v10
	;; [unrolled: 1-line block ×6, first 2 shown]
	v_add_f16_e32 v22, v16, v14
	v_add_f16_e32 v23, v5, v2
	v_sub_f16_e32 v24, v16, v14
	v_sub_f16_e32 v35, v5, v2
	;; [unrolled: 1-line block ×3, first 2 shown]
	v_add_f16_e32 v4, v4, v9
	v_add_f16_e32 v9, v15, v17
	v_sub_f16_e32 v14, v14, v11
	v_sub_f16_e32 v16, v11, v16
	;; [unrolled: 1-line block ×3, first 2 shown]
	v_add_f16_e32 v11, v22, v11
	v_add_f16_e32 v3, v23, v3
	v_mul_f16_e32 v8, 0x3a52, v8
	v_mul_f16_e32 v10, 0x3a52, v10
	;; [unrolled: 1-line block ×7, first 2 shown]
	v_add_f16_e32 v6, v6, v4
	v_add_f16_e32 v12, v12, v9
	v_mul_f16_e32 v24, 0xbb00, v14
	v_fmamk_f16 v7, v7, 0x2b26, v8
	v_fmamk_f16 v13, v13, 0x2b26, v10
	v_fma_f16 v15, v20, 0x39e0, -v15
	v_fma_f16 v17, v21, 0x39e0, -v17
	;; [unrolled: 1-line block ×4, first 2 shown]
	v_fmamk_f16 v20, v16, 0xb574, v22
	v_fmamk_f16 v21, v5, 0xb574, v23
	v_fma_f16 v2, v2, 0xbb00, -v23
	v_fma_f16 v5, v5, 0x3574, -v35
	v_fmamk_f16 v4, v4, 0xbcab, v6
	v_fmamk_f16 v9, v9, 0xbcab, v12
	v_fma_f16 v14, v14, 0xbb00, -v22
	v_fma_f16 v16, v16, 0x3574, -v24
	v_fmac_f16_e32 v20, 0xb70e, v11
	v_fmac_f16_e32 v21, 0xb70e, v3
	;; [unrolled: 1-line block ×4, first 2 shown]
	v_pack_b32_f16 v3, v6, v12
	v_add_f16_e32 v6, v7, v4
	v_add_f16_e32 v7, v13, v9
	v_fmac_f16_e32 v14, 0xb70e, v11
	v_fmac_f16_e32 v16, 0xb70e, v11
	v_add_f16_e32 v11, v15, v4
	v_add_f16_e32 v4, v8, v4
	;; [unrolled: 1-line block ×4, first 2 shown]
	global_store_dword v[18:19], v3, off
	v_add_f16_e32 v3, v21, v6
	v_sub_f16_e32 v9, v7, v20
	v_add_f16_e32 v10, v5, v4
	v_sub_f16_e32 v13, v8, v16
	v_sub_f16_e32 v15, v11, v2
	v_add_f16_e32 v17, v14, v12
	v_add_f16_e32 v2, v2, v11
	v_sub_f16_e32 v11, v12, v14
	v_sub_f16_e32 v4, v4, v5
	v_add_f16_e32 v5, v16, v8
	v_sub_f16_e32 v6, v6, v21
	v_add_f16_e32 v7, v20, v7
	v_pack_b32_f16 v3, v3, v9
	v_pack_b32_f16 v8, v10, v13
	v_pack_b32_f16 v9, v15, v17
	v_pack_b32_f16 v2, v2, v11
	v_pack_b32_f16 v4, v4, v5
	v_pack_b32_f16 v5, v6, v7
	global_store_dword v[25:26], v3, off
	global_store_dword v[27:28], v8, off
	;; [unrolled: 1-line block ×6, first 2 shown]
.LBB0_20:
	s_endpgm
	.section	.rodata,"a",@progbits
	.p2align	6, 0x0
	.amdhsa_kernel fft_rtc_back_len1512_factors_2_2_2_3_3_3_7_wgs_63_tpt_63_halfLds_half_ip_CI_sbrr_dirReg
		.amdhsa_group_segment_fixed_size 0
		.amdhsa_private_segment_fixed_size 0
		.amdhsa_kernarg_size 88
		.amdhsa_user_sgpr_count 6
		.amdhsa_user_sgpr_private_segment_buffer 1
		.amdhsa_user_sgpr_dispatch_ptr 0
		.amdhsa_user_sgpr_queue_ptr 0
		.amdhsa_user_sgpr_kernarg_segment_ptr 1
		.amdhsa_user_sgpr_dispatch_id 0
		.amdhsa_user_sgpr_flat_scratch_init 0
		.amdhsa_user_sgpr_private_segment_size 0
		.amdhsa_wavefront_size32 1
		.amdhsa_uses_dynamic_stack 0
		.amdhsa_system_sgpr_private_segment_wavefront_offset 0
		.amdhsa_system_sgpr_workgroup_id_x 1
		.amdhsa_system_sgpr_workgroup_id_y 0
		.amdhsa_system_sgpr_workgroup_id_z 0
		.amdhsa_system_sgpr_workgroup_info 0
		.amdhsa_system_vgpr_workitem_id 0
		.amdhsa_next_free_vgpr 117
		.amdhsa_next_free_sgpr 23
		.amdhsa_reserve_vcc 1
		.amdhsa_reserve_flat_scratch 0
		.amdhsa_float_round_mode_32 0
		.amdhsa_float_round_mode_16_64 0
		.amdhsa_float_denorm_mode_32 3
		.amdhsa_float_denorm_mode_16_64 3
		.amdhsa_dx10_clamp 1
		.amdhsa_ieee_mode 1
		.amdhsa_fp16_overflow 0
		.amdhsa_workgroup_processor_mode 1
		.amdhsa_memory_ordered 1
		.amdhsa_forward_progress 0
		.amdhsa_shared_vgpr_count 0
		.amdhsa_exception_fp_ieee_invalid_op 0
		.amdhsa_exception_fp_denorm_src 0
		.amdhsa_exception_fp_ieee_div_zero 0
		.amdhsa_exception_fp_ieee_overflow 0
		.amdhsa_exception_fp_ieee_underflow 0
		.amdhsa_exception_fp_ieee_inexact 0
		.amdhsa_exception_int_div_zero 0
	.end_amdhsa_kernel
	.text
.Lfunc_end0:
	.size	fft_rtc_back_len1512_factors_2_2_2_3_3_3_7_wgs_63_tpt_63_halfLds_half_ip_CI_sbrr_dirReg, .Lfunc_end0-fft_rtc_back_len1512_factors_2_2_2_3_3_3_7_wgs_63_tpt_63_halfLds_half_ip_CI_sbrr_dirReg
                                        ; -- End function
	.section	.AMDGPU.csdata,"",@progbits
; Kernel info:
; codeLenInByte = 19860
; NumSgprs: 25
; NumVgprs: 117
; ScratchSize: 0
; MemoryBound: 0
; FloatMode: 240
; IeeeMode: 1
; LDSByteSize: 0 bytes/workgroup (compile time only)
; SGPRBlocks: 3
; VGPRBlocks: 14
; NumSGPRsForWavesPerEU: 25
; NumVGPRsForWavesPerEU: 117
; Occupancy: 8
; WaveLimiterHint : 1
; COMPUTE_PGM_RSRC2:SCRATCH_EN: 0
; COMPUTE_PGM_RSRC2:USER_SGPR: 6
; COMPUTE_PGM_RSRC2:TRAP_HANDLER: 0
; COMPUTE_PGM_RSRC2:TGID_X_EN: 1
; COMPUTE_PGM_RSRC2:TGID_Y_EN: 0
; COMPUTE_PGM_RSRC2:TGID_Z_EN: 0
; COMPUTE_PGM_RSRC2:TIDIG_COMP_CNT: 0
	.text
	.p2alignl 6, 3214868480
	.fill 48, 4, 3214868480
	.type	__hip_cuid_f06b5b84ce1e3647,@object ; @__hip_cuid_f06b5b84ce1e3647
	.section	.bss,"aw",@nobits
	.globl	__hip_cuid_f06b5b84ce1e3647
__hip_cuid_f06b5b84ce1e3647:
	.byte	0                               ; 0x0
	.size	__hip_cuid_f06b5b84ce1e3647, 1

	.ident	"AMD clang version 19.0.0git (https://github.com/RadeonOpenCompute/llvm-project roc-6.4.0 25133 c7fe45cf4b819c5991fe208aaa96edf142730f1d)"
	.section	".note.GNU-stack","",@progbits
	.addrsig
	.addrsig_sym __hip_cuid_f06b5b84ce1e3647
	.amdgpu_metadata
---
amdhsa.kernels:
  - .args:
      - .actual_access:  read_only
        .address_space:  global
        .offset:         0
        .size:           8
        .value_kind:     global_buffer
      - .offset:         8
        .size:           8
        .value_kind:     by_value
      - .actual_access:  read_only
        .address_space:  global
        .offset:         16
        .size:           8
        .value_kind:     global_buffer
      - .actual_access:  read_only
        .address_space:  global
        .offset:         24
        .size:           8
        .value_kind:     global_buffer
      - .offset:         32
        .size:           8
        .value_kind:     by_value
      - .actual_access:  read_only
        .address_space:  global
        .offset:         40
        .size:           8
        .value_kind:     global_buffer
      - .actual_access:  read_only
        .address_space:  global
        .offset:         48
        .size:           8
        .value_kind:     global_buffer
      - .offset:         56
        .size:           4
        .value_kind:     by_value
      - .actual_access:  read_only
        .address_space:  global
        .offset:         64
        .size:           8
        .value_kind:     global_buffer
      - .actual_access:  read_only
        .address_space:  global
        .offset:         72
        .size:           8
        .value_kind:     global_buffer
      - .address_space:  global
        .offset:         80
        .size:           8
        .value_kind:     global_buffer
    .group_segment_fixed_size: 0
    .kernarg_segment_align: 8
    .kernarg_segment_size: 88
    .language:       OpenCL C
    .language_version:
      - 2
      - 0
    .max_flat_workgroup_size: 63
    .name:           fft_rtc_back_len1512_factors_2_2_2_3_3_3_7_wgs_63_tpt_63_halfLds_half_ip_CI_sbrr_dirReg
    .private_segment_fixed_size: 0
    .sgpr_count:     25
    .sgpr_spill_count: 0
    .symbol:         fft_rtc_back_len1512_factors_2_2_2_3_3_3_7_wgs_63_tpt_63_halfLds_half_ip_CI_sbrr_dirReg.kd
    .uniform_work_group_size: 1
    .uses_dynamic_stack: false
    .vgpr_count:     117
    .vgpr_spill_count: 0
    .wavefront_size: 32
    .workgroup_processor_mode: 1
amdhsa.target:   amdgcn-amd-amdhsa--gfx1030
amdhsa.version:
  - 1
  - 2
...

	.end_amdgpu_metadata
